;; amdgpu-corpus repo=ROCm/rocFFT kind=compiled arch=gfx906 opt=O3
	.text
	.amdgcn_target "amdgcn-amd-amdhsa--gfx906"
	.amdhsa_code_object_version 6
	.protected	bluestein_single_fwd_len1280_dim1_dp_op_CI_CI ; -- Begin function bluestein_single_fwd_len1280_dim1_dp_op_CI_CI
	.globl	bluestein_single_fwd_len1280_dim1_dp_op_CI_CI
	.p2align	8
	.type	bluestein_single_fwd_len1280_dim1_dp_op_CI_CI,@function
bluestein_single_fwd_len1280_dim1_dp_op_CI_CI: ; @bluestein_single_fwd_len1280_dim1_dp_op_CI_CI
; %bb.0:
	s_load_dwordx4 s[16:19], s[4:5], 0x28
	s_mov_b64 s[26:27], s[2:3]
	v_mul_u32_u24_e32 v1, 0x334, v0
	s_mov_b64 s[24:25], s[0:1]
	v_add_u32_sdwa v4, s6, v1 dst_sel:DWORD dst_unused:UNUSED_PAD src0_sel:DWORD src1_sel:WORD_1
	v_mov_b32_e32 v5, 0
	s_add_u32 s24, s24, s7
	s_waitcnt lgkmcnt(0)
	v_cmp_gt_u64_e32 vcc, s[16:17], v[4:5]
	s_addc_u32 s25, s25, 0
	s_and_saveexec_b64 s[0:1], vcc
	s_cbranch_execz .LBB0_10
; %bb.1:
	s_load_dwordx4 s[8:11], s[4:5], 0x18
	s_load_dwordx4 s[0:3], s[4:5], 0x0
	s_movk_i32 s6, 0x50
	v_mul_lo_u16_sdwa v1, v1, s6 dst_sel:DWORD dst_unused:UNUSED_PAD src0_sel:WORD_1 src1_sel:DWORD
	v_sub_u16_e32 v7, v0, v1
	s_waitcnt lgkmcnt(0)
	s_load_dwordx4 s[12:15], s[8:9], 0x0
	v_mov_b32_e32 v5, v4
	buffer_store_dword v5, off, s[24:27], 0 ; 4-byte Folded Spill
	s_nop 0
	buffer_store_dword v6, off, s[24:27], 0 offset:4 ; 4-byte Folded Spill
	v_lshlrev_b32_e32 v237, 4, v7
	s_movk_i32 s8, 0x1000
	s_waitcnt lgkmcnt(0)
	v_mad_u64_u32 v[0:1], s[6:7], s14, v4, 0
	v_mad_u64_u32 v[2:3], s[6:7], s12, v7, 0
	s_movk_i32 s14, 0x2000
	s_mov_b32 s16, 0xa6aea964
	v_mad_u64_u32 v[4:5], s[6:7], s15, v4, v[1:2]
	s_mov_b32 s17, 0xbfd87de2
	s_mov_b32 s21, 0x3fed906b
	v_mad_u64_u32 v[5:6], s[6:7], s13, v7, v[3:4]
	v_mov_b32_e32 v1, v4
	v_lshlrev_b64 v[0:1], 4, v[0:1]
	v_mov_b32_e32 v6, s19
	v_mov_b32_e32 v3, v5
	v_add_co_u32_e32 v4, vcc, s18, v0
	v_addc_co_u32_e32 v5, vcc, v6, v1, vcc
	v_lshlrev_b64 v[0:1], 4, v[2:3]
	v_mov_b32_e32 v2, s1
	v_add_co_u32_e32 v0, vcc, v4, v0
	v_addc_co_u32_e32 v1, vcc, v5, v1, vcc
	v_add_co_u32_e32 v40, vcc, s0, v237
	s_mul_i32 s6, s13, 0x500
	s_mul_hi_u32 s7, s12, 0x500
	v_addc_co_u32_e32 v41, vcc, 0, v2, vcc
	s_add_i32 s6, s7, s6
	s_mul_i32 s7, s12, 0x500
	v_mov_b32_e32 v3, s6
	v_add_co_u32_e32 v2, vcc, s7, v0
	v_addc_co_u32_e32 v3, vcc, v1, v3, vcc
	global_load_dwordx4 v[64:67], v[0:1], off
	global_load_dwordx4 v[68:71], v[2:3], off
	global_load_dwordx4 v[24:27], v237, s[0:1]
	global_load_dwordx4 v[12:15], v237, s[0:1] offset:1280
	v_mov_b32_e32 v1, s6
	v_add_co_u32_e32 v0, vcc, s7, v2
	v_addc_co_u32_e32 v1, vcc, v3, v1, vcc
	v_mov_b32_e32 v3, s6
	v_add_co_u32_e32 v2, vcc, s7, v0
	v_addc_co_u32_e32 v3, vcc, v1, v3, vcc
	global_load_dwordx4 v[72:75], v[0:1], off
	global_load_dwordx4 v[76:79], v[2:3], off
	global_load_dwordx4 v[16:19], v237, s[0:1] offset:2560
	global_load_dwordx4 v[152:155], v237, s[0:1] offset:3840
	v_mov_b32_e32 v1, s6
	v_add_co_u32_e32 v0, vcc, s7, v2
	v_addc_co_u32_e32 v1, vcc, v3, v1, vcc
	v_add_co_u32_e32 v28, vcc, s8, v40
	v_addc_co_u32_e32 v29, vcc, 0, v41, vcc
	global_load_dwordx4 v[80:83], v[0:1], off
	v_mov_b32_e32 v2, s6
	v_add_co_u32_e32 v0, vcc, s7, v0
	v_addc_co_u32_e32 v1, vcc, v1, v2, vcc
	v_add_co_u32_e32 v30, vcc, s7, v0
	v_addc_co_u32_e32 v31, vcc, v1, v2, vcc
	global_load_dwordx4 v[84:87], v[0:1], off
	global_load_dwordx4 v[20:23], v[28:29], off offset:1024
	global_load_dwordx4 v[8:11], v[28:29], off offset:2304
	global_load_dwordx4 v[88:91], v[30:31], off
	global_load_dwordx4 v[148:151], v[28:29], off offset:3584
	v_or_b32_e32 v1, 0x280, v7
	v_mad_u64_u32 v[34:35], s[8:9], s12, v1, 0
	v_mov_b32_e32 v0, s6
	v_add_co_u32_e32 v32, vcc, s7, v30
	v_mov_b32_e32 v28, v35
	v_mad_u64_u32 v[38:39], s[8:9], s13, v1, v[28:29]
	v_addc_co_u32_e32 v33, vcc, v31, v0, vcc
	v_add_co_u32_e32 v36, vcc, s14, v40
	v_mov_b32_e32 v0, 0xa00
	v_addc_co_u32_e32 v37, vcc, 0, v41, vcc
	global_load_dwordx4 v[92:95], v[32:33], off
	global_load_dwordx4 v[60:63], v[36:37], off offset:768
	global_load_dwordx4 v[28:31], v[36:37], off offset:3328
	v_mov_b32_e32 v35, v38
	v_mad_u64_u32 v[32:33], s[8:9], s12, v0, v[32:33]
	v_lshlrev_b64 v[34:35], 4, v[34:35]
	s_mul_i32 s8, s13, 0xa00
	v_add_co_u32_e32 v34, vcc, v4, v34
	v_addc_co_u32_e32 v35, vcc, v5, v35, vcc
	v_add_u32_e32 v33, s8, v33
	global_load_dwordx4 v[100:103], v[32:33], off
	v_mov_b32_e32 v0, s6
	v_add_co_u32_e32 v32, vcc, s7, v32
	v_addc_co_u32_e32 v33, vcc, v33, v0, vcc
	s_movk_i32 s8, 0x3000
	v_add_co_u32_e32 v42, vcc, s8, v40
	v_addc_co_u32_e32 v43, vcc, 0, v41, vcc
	global_load_dwordx4 v[104:107], v[32:33], off
	v_add_co_u32_e32 v32, vcc, s7, v32
	v_addc_co_u32_e32 v33, vcc, v33, v0, vcc
	v_add_co_u32_e32 v44, vcc, s7, v32
	buffer_store_dword v1, off, s[24:27], 0 offset:44 ; 4-byte Folded Spill
	s_waitcnt vmcnt(17)
	v_mul_f64 v[128:129], v[66:67], v[26:27]
	v_mul_f64 v[130:131], v[64:65], v[26:27]
	s_waitcnt vmcnt(16)
	v_mul_f64 v[132:133], v[70:71], v[14:15]
	v_mul_f64 v[134:135], v[68:69], v[14:15]
	v_lshlrev_b32_e32 v213, 4, v1
	v_addc_co_u32_e32 v45, vcc, v33, v0, vcc
	global_load_dwordx4 v[96:99], v[34:35], off
	global_load_dwordx4 v[48:51], v213, s[0:1]
	global_load_dwordx4 v[108:111], v[32:33], off
	global_load_dwordx4 v[52:55], v[42:43], off offset:512
	global_load_dwordx4 v[36:39], v[42:43], off offset:1792
	global_load_dwordx4 v[112:115], v[44:45], off
	s_nop 0
	global_load_dwordx4 v[32:35], v[42:43], off offset:3072
	v_add_co_u32_e32 v42, vcc, s7, v44
	s_waitcnt vmcnt(19)
	v_mul_f64 v[140:141], v[78:79], v[154:155]
	v_fma_f64 v[64:65], v[64:65], v[24:25], v[128:129]
	v_fma_f64 v[66:67], v[66:67], v[24:25], -v[130:131]
	v_fma_f64 v[68:69], v[68:69], v[12:13], v[132:133]
	v_addc_co_u32_e32 v43, vcc, v45, v0, vcc
	s_movk_i32 s8, 0x4000
	v_fma_f64 v[70:71], v[70:71], v[12:13], -v[134:135]
	v_add_co_u32_e32 v44, vcc, s8, v40
	v_addc_co_u32_e32 v45, vcc, 0, v41, vcc
	v_add_co_u32_e32 v46, vcc, s7, v42
	v_addc_co_u32_e32 v47, vcc, v43, v0, vcc
	global_load_dwordx4 v[116:119], v[42:43], off
	global_load_dwordx4 v[120:123], v[46:47], off
	global_load_dwordx4 v[56:59], v[44:45], off offset:256
	s_nop 0
	global_load_dwordx4 v[40:43], v[44:45], off offset:1536
	v_add_co_u32_e32 v46, vcc, s7, v46
	s_waitcnt vmcnt(17)
	v_mul_f64 v[132:133], v[90:91], v[150:151]
	v_addc_co_u32_e32 v47, vcc, v47, v0, vcc
	global_load_dwordx4 v[124:127], v[46:47], off
	s_nop 0
	global_load_dwordx4 v[44:47], v[44:45], off offset:2816
	v_mul_f64 v[142:143], v[76:77], v[154:155]
	v_fma_f64 v[76:77], v[76:77], v[152:153], v[140:141]
	buffer_store_dword v152, off, s[24:27], 0 offset:28 ; 4-byte Folded Spill
	s_nop 0
	buffer_store_dword v153, off, s[24:27], 0 offset:32 ; 4-byte Folded Spill
	buffer_store_dword v154, off, s[24:27], 0 offset:36 ; 4-byte Folded Spill
	;; [unrolled: 1-line block ×3, first 2 shown]
	v_mul_f64 v[134:135], v[88:89], v[150:151]
	ds_write_b128 v237, v[64:67]
	ds_write_b128 v237, v[68:71] offset:1280
	v_fma_f64 v[68:69], v[88:89], v[148:149], v[132:133]
	buffer_store_dword v148, off, s[24:27], 0 offset:12 ; 4-byte Folded Spill
	s_nop 0
	buffer_store_dword v149, off, s[24:27], 0 offset:16 ; 4-byte Folded Spill
	buffer_store_dword v150, off, s[24:27], 0 offset:20 ; 4-byte Folded Spill
	;; [unrolled: 1-line block ×3, first 2 shown]
	v_mul_f64 v[136:137], v[74:75], v[18:19]
	v_mul_f64 v[138:139], v[72:73], v[18:19]
	;; [unrolled: 1-line block ×6, first 2 shown]
	s_mov_b32 s6, 0x667f3bcd
	s_mov_b32 s7, 0xbfe6a09e
	v_fma_f64 v[72:73], v[72:73], v[16:17], v[136:137]
	v_fma_f64 v[74:75], v[74:75], v[16:17], -v[138:139]
	s_waitcnt vmcnt(25)
	v_mul_f64 v[136:137], v[94:95], v[62:63]
	v_mul_f64 v[138:139], v[92:93], v[62:63]
	v_fma_f64 v[80:81], v[80:81], v[20:21], v[144:145]
	v_fma_f64 v[82:83], v[82:83], v[20:21], -v[146:147]
	v_fma_f64 v[64:65], v[84:85], v[8:9], v[128:129]
	v_fma_f64 v[66:67], v[86:87], v[8:9], -v[130:131]
	s_mov_b32 s13, 0x3fe6a09e
	s_mov_b32 s12, s6
	v_fma_f64 v[84:85], v[92:93], v[60:61], v[136:137]
	v_fma_f64 v[86:87], v[94:95], v[60:61], -v[138:139]
	s_mov_b32 s14, 0xcf328d46
	s_mov_b32 s15, 0xbfed906b
	;; [unrolled: 1-line block ×5, first 2 shown]
	v_lshlrev_b16_e32 v0, 4, v7
	v_lshlrev_b32_e32 v212, 4, v0
	s_load_dwordx2 s[4:5], s[4:5], 0x38
	v_cmp_gt_u16_e32 vcc, 16, v7
                                        ; implicit-def: $vgpr156_vgpr157
                                        ; implicit-def: $vgpr160_vgpr161
                                        ; implicit-def: $vgpr164_vgpr165
                                        ; implicit-def: $vgpr168_vgpr169
	s_waitcnt vmcnt(10)
	v_mul_f64 v[88:89], v[122:123], v[42:43]
	v_fma_f64 v[78:79], v[78:79], v[152:153], -v[142:143]
	ds_write_b128 v237, v[72:75] offset:2560
	ds_write_b128 v237, v[76:79] offset:3840
	;; [unrolled: 1-line block ×4, first 2 shown]
	v_fma_f64 v[70:71], v[90:91], v[148:149], -v[134:135]
	v_mul_f64 v[64:65], v[98:99], v[50:51]
	v_mul_f64 v[66:67], v[96:97], v[50:51]
	ds_write_b128 v237, v[68:71] offset:7680
	ds_write_b128 v237, v[84:87] offset:8960
	v_mul_f64 v[68:69], v[102:103], v[30:31]
	v_mul_f64 v[70:71], v[100:101], v[30:31]
	;; [unrolled: 1-line block ×11, first 2 shown]
	s_waitcnt vmcnt(8)
	v_mul_f64 v[92:93], v[126:127], v[46:47]
	v_mul_f64 v[94:95], v[124:125], v[46:47]
	v_fma_f64 v[64:65], v[96:97], v[48:49], v[64:65]
	v_fma_f64 v[66:67], v[98:99], v[48:49], -v[66:67]
	v_fma_f64 v[68:69], v[100:101], v[28:29], v[68:69]
	v_fma_f64 v[70:71], v[102:103], v[28:29], -v[70:71]
	v_fma_f64 v[72:73], v[104:105], v[52:53], v[72:73]
	v_fma_f64 v[74:75], v[106:107], v[52:53], -v[74:75]
	v_fma_f64 v[76:77], v[108:109], v[36:37], v[76:77]
	v_fma_f64 v[78:79], v[110:111], v[36:37], -v[78:79]
	v_fma_f64 v[80:81], v[112:113], v[32:33], v[80:81]
	v_fma_f64 v[82:83], v[114:115], v[32:33], -v[82:83]
	v_fma_f64 v[84:85], v[116:117], v[56:57], v[84:85]
	v_fma_f64 v[86:87], v[118:119], v[56:57], -v[86:87]
	v_fma_f64 v[88:89], v[120:121], v[40:41], v[88:89]
	v_fma_f64 v[90:91], v[122:123], v[40:41], -v[90:91]
	v_fma_f64 v[92:93], v[124:125], v[44:45], v[92:93]
	v_fma_f64 v[94:95], v[126:127], v[44:45], -v[94:95]
	s_load_dwordx4 s[8:11], s[10:11], 0x0
	ds_write_b128 v237, v[64:67] offset:10240
	ds_write_b128 v237, v[68:71] offset:11520
	;; [unrolled: 1-line block ×8, first 2 shown]
	s_waitcnt vmcnt(0) lgkmcnt(0)
	s_barrier
	ds_read_b128 v[64:67], v237
	ds_read_b128 v[68:71], v237 offset:1280
	ds_read_b128 v[72:75], v237 offset:5120
	ds_read_b128 v[76:79], v237 offset:6400
	ds_read_b128 v[80:83], v237 offset:10240
	ds_read_b128 v[84:87], v237 offset:11520
	ds_read_b128 v[88:91], v237 offset:12800
	ds_read_b128 v[92:95], v237 offset:15360
	ds_read_b128 v[96:99], v237 offset:17920
	s_waitcnt lgkmcnt(4)
	v_add_f64 v[116:117], v[64:65], -v[80:81]
	v_add_f64 v[118:119], v[66:67], -v[82:83]
	ds_read_b128 v[80:83], v237 offset:16640
	ds_read_b128 v[100:103], v237 offset:2560
	s_waitcnt lgkmcnt(3)
	v_add_f64 v[120:121], v[72:73], -v[92:93]
	v_add_f64 v[122:123], v[74:75], -v[94:95]
	ds_read_b128 v[92:95], v237 offset:3840
	ds_read_b128 v[104:107], v237 offset:14080
	ds_read_b128 v[108:111], v237 offset:7680
	v_add_f64 v[84:85], v[68:69], -v[84:85]
	s_waitcnt lgkmcnt(3)
	v_add_f64 v[124:125], v[100:101], -v[88:89]
	v_add_f64 v[126:127], v[102:103], -v[90:91]
	ds_read_b128 v[88:91], v237 offset:8960
	ds_read_b128 v[112:115], v237 offset:19200
	s_waitcnt lgkmcnt(2)
	v_add_f64 v[96:97], v[108:109], -v[96:97]
	v_add_f64 v[98:99], v[110:111], -v[98:99]
	v_fma_f64 v[128:129], v[64:65], 2.0, -v[116:117]
	v_fma_f64 v[64:65], v[72:73], 2.0, -v[120:121]
	v_add_f64 v[82:83], v[78:79], -v[82:83]
	v_fma_f64 v[72:73], v[100:101], 2.0, -v[124:125]
	v_add_f64 v[104:105], v[92:93], -v[104:105]
	v_fma_f64 v[130:131], v[66:67], 2.0, -v[118:119]
	v_fma_f64 v[100:101], v[108:109], 2.0, -v[96:97]
	s_waitcnt lgkmcnt(0)
	v_add_f64 v[108:109], v[90:91], -v[114:115]
	v_fma_f64 v[66:67], v[74:75], 2.0, -v[122:123]
	v_fma_f64 v[74:75], v[102:103], 2.0, -v[126:127]
	;; [unrolled: 1-line block ×3, first 2 shown]
	v_add_f64 v[86:87], v[70:71], -v[86:87]
	v_add_f64 v[80:81], v[76:77], -v[80:81]
	;; [unrolled: 1-line block ×6, first 2 shown]
	v_add_f64 v[114:115], v[118:119], v[120:121]
	v_add_f64 v[120:121], v[84:85], -v[82:83]
	v_add_f64 v[122:123], v[104:105], -v[108:109]
	v_add_f64 v[96:97], v[126:127], v[96:97]
	v_add_f64 v[132:133], v[86:87], v[80:81]
	;; [unrolled: 1-line block ×3, first 2 shown]
	v_fma_f64 v[116:117], v[116:117], 2.0, -v[112:113]
	v_fma_f64 v[124:125], v[124:125], 2.0, -v[98:99]
	;; [unrolled: 1-line block ×9, first 2 shown]
	v_fma_f64 v[144:145], v[124:125], s[6:7], v[116:117]
	v_fma_f64 v[70:71], v[70:71], 2.0, -v[86:87]
	v_fma_f64 v[78:79], v[78:79], 2.0, -v[82:83]
	v_fma_f64 v[84:85], v[138:139], s[6:7], v[136:137]
	v_fma_f64 v[86:87], v[126:127], s[6:7], v[118:119]
	v_fma_f64 v[76:77], v[76:77], 2.0, -v[80:81]
	v_fma_f64 v[146:147], v[142:143], s[6:7], v[140:141]
	v_fma_f64 v[90:91], v[90:91], 2.0, -v[108:109]
	;; [unrolled: 2-line block ×3, first 2 shown]
	v_add_f64 v[108:109], v[128:129], -v[64:65]
	v_fma_f64 v[82:83], v[142:143], s[6:7], v[84:85]
	v_fma_f64 v[124:125], v[124:125], s[12:13], v[86:87]
	v_fma_f64 v[84:85], v[92:93], 2.0, -v[104:105]
	v_fma_f64 v[80:81], v[138:139], s[12:13], v[146:147]
	v_fma_f64 v[86:87], v[94:95], 2.0, -v[106:107]
	v_fma_f64 v[92:93], v[116:117], 2.0, -v[126:127]
	v_add_f64 v[102:103], v[74:75], -v[102:103]
	v_add_f64 v[76:77], v[68:69], -v[76:77]
	v_fma_f64 v[94:95], v[136:137], 2.0, -v[82:83]
	v_fma_f64 v[104:105], v[118:119], 2.0, -v[124:125]
	v_add_f64 v[110:111], v[130:131], -v[66:67]
	v_fma_f64 v[106:107], v[140:141], 2.0, -v[80:81]
	v_add_f64 v[90:91], v[86:87], -v[90:91]
	v_add_f64 v[100:101], v[72:73], -v[100:101]
	v_add_f64 v[78:79], v[70:71], -v[78:79]
	v_add_f64 v[88:89], v[84:85], -v[88:89]
	v_fma_f64 v[64:65], v[94:95], s[14:15], v[92:93]
	v_add_f64 v[116:117], v[108:109], -v[102:103]
	v_fma_f64 v[140:141], v[122:123], s[12:13], v[120:121]
	v_fma_f64 v[66:67], v[106:107], s[14:15], v[104:105]
	v_add_f64 v[136:137], v[76:77], -v[90:91]
	v_add_f64 v[118:119], v[110:111], v[100:101]
	v_fma_f64 v[150:151], v[96:97], s[12:13], v[114:115]
	v_add_f64 v[138:139], v[78:79], v[88:89]
	v_fma_f64 v[64:65], v[106:107], s[16:17], v[64:65]
	v_fma_f64 v[106:107], v[98:99], s[12:13], v[112:113]
	v_fma_f64 v[142:143], v[108:109], 2.0, -v[116:117]
	v_fma_f64 v[152:153], v[134:135], s[12:13], v[132:133]
	v_fma_f64 v[146:147], v[76:77], 2.0, -v[136:137]
	v_fma_f64 v[144:145], v[110:111], 2.0, -v[118:119]
	v_fma_f64 v[66:67], v[94:95], s[18:19], v[66:67]
	v_fma_f64 v[148:149], v[78:79], 2.0, -v[138:139]
	v_fma_f64 v[108:109], v[128:129], 2.0, -v[108:109]
	v_fma_f64 v[154:155], v[96:97], s[6:7], v[106:107]
	v_fma_f64 v[96:97], v[134:135], s[6:7], v[140:141]
	;; [unrolled: 1-line block ×5, first 2 shown]
	v_fma_f64 v[110:111], v[130:131], 2.0, -v[110:111]
	v_fma_f64 v[72:73], v[72:73], 2.0, -v[100:101]
	;; [unrolled: 1-line block ×11, first 2 shown]
	v_fma_f64 v[68:69], v[148:149], s[6:7], v[94:95]
	v_fma_f64 v[88:89], v[120:121], s[16:17], v[112:113]
	v_add_f64 v[114:115], v[108:109], -v[72:73]
	v_add_f64 v[122:123], v[110:111], -v[74:75]
	v_add_f64 v[94:95], v[76:77], -v[70:71]
	v_add_f64 v[100:101], v[78:79], -v[84:85]
	v_fma_f64 v[106:107], v[148:149], s[6:7], v[144:145]
	v_fma_f64 v[74:75], v[86:87], s[16:17], v[102:103]
	v_fma_f64 v[84:85], v[82:83], s[18:19], v[126:127]
	v_fma_f64 v[72:73], v[86:87], s[14:15], v[88:89]
	v_fma_f64 v[88:89], v[108:109], 2.0, -v[114:115]
	v_fma_f64 v[90:91], v[110:111], 2.0, -v[122:123]
	;; [unrolled: 1-line block ×4, first 2 shown]
	v_fma_f64 v[86:87], v[80:81], s[18:19], v[124:125]
	v_fma_f64 v[70:71], v[146:147], s[12:13], v[106:107]
	;; [unrolled: 1-line block ×6, first 2 shown]
	v_add_f64 v[76:77], v[88:89], -v[76:77]
	v_add_f64 v[78:79], v[90:91], -v[78:79]
	v_fma_f64 v[120:121], v[98:99], s[20:21], v[134:135]
	v_fma_f64 v[80:81], v[80:81], s[14:15], v[84:85]
	;; [unrolled: 1-line block ×3, first 2 shown]
	s_barrier
	v_fma_f64 v[88:89], v[88:89], 2.0, -v[76:77]
	v_fma_f64 v[90:91], v[90:91], 2.0, -v[78:79]
	v_fma_f64 v[84:85], v[138:139], s[6:7], v[106:107]
	v_fma_f64 v[86:87], v[136:137], s[12:13], v[108:109]
	;; [unrolled: 1-line block ×4, first 2 shown]
	v_fma_f64 v[92:93], v[92:93], 2.0, -v[64:65]
	v_fma_f64 v[96:97], v[142:143], 2.0, -v[68:69]
	;; [unrolled: 1-line block ×3, first 2 shown]
	ds_write_b128 v212, v[88:91]
	v_add_f64 v[88:89], v[114:115], -v[100:101]
	v_add_f64 v[90:91], v[122:123], v[94:95]
	v_fma_f64 v[94:95], v[104:105], 2.0, -v[66:67]
	v_fma_f64 v[100:101], v[112:113], 2.0, -v[72:73]
	;; [unrolled: 1-line block ×11, first 2 shown]
	ds_write_b128 v212, v[92:95] offset:16
	ds_write_b128 v212, v[96:99] offset:32
	;; [unrolled: 1-line block ×15, first 2 shown]
	s_waitcnt lgkmcnt(0)
	s_barrier
	ds_read_b128 v[100:103], v237
	ds_read_b128 v[96:99], v237 offset:1280
	ds_read_b128 v[128:131], v237 offset:8192
	;; [unrolled: 1-line block ×14, first 2 shown]
	s_and_saveexec_b64 s[6:7], vcc
	s_cbranch_execz .LBB0_3
; %bb.2:
	ds_read_b128 v[108:111], v237 offset:3840
	ds_read_b128 v[156:159], v237 offset:7936
	ds_read_b128 v[160:163], v237 offset:12032
	ds_read_b128 v[164:167], v237 offset:16128
	ds_read_b128 v[168:171], v237 offset:20224
.LBB0_3:
	s_or_b64 exec, exec, s[6:7]
	v_lshlrev_b32_e32 v0, 6, v7
	v_and_b32_e32 v0, 0x3c0, v0
	global_load_dwordx4 v[64:67], v0, s[2:3]
	global_load_dwordx4 v[68:71], v0, s[2:3] offset:16
	global_load_dwordx4 v[72:75], v0, s[2:3] offset:32
	;; [unrolled: 1-line block ×6, first 2 shown]
	global_load_dwordx2 v[1:2], v0, s[2:3] offset:56
	v_and_b32_e32 v172, 15, v7
	v_lshlrev_b32_e32 v0, 6, v172
	global_load_dwordx2 v[235:236], v0, s[2:3]
	s_mov_b32 s14, 0x134454ff
	s_mov_b32 s15, 0x3fee6f0e
	;; [unrolled: 1-line block ×10, first 2 shown]
	v_lshrrev_b32_e32 v0, 4, v7
	v_mul_u32_u24_e32 v0, 0x50, v0
	v_or_b32_e32 v0, v0, v172
	v_add_u32_e32 v174, 0x50, v7
	v_lshlrev_b32_e32 v0, 4, v0
	v_add_u32_e32 v173, 0xa0, v7
	s_waitcnt vmcnt(8) lgkmcnt(8)
	v_mul_f64 v[175:176], v[150:151], v[66:67]
	s_waitcnt vmcnt(7)
	v_mul_f64 v[179:180], v[130:131], v[70:71]
	s_waitcnt vmcnt(6) lgkmcnt(4)
	v_mul_f64 v[183:184], v[154:155], v[74:75]
	s_waitcnt vmcnt(5)
	v_mul_f64 v[187:188], v[122:123], v[78:79]
	v_mul_f64 v[177:178], v[148:149], v[66:67]
	;; [unrolled: 1-line block ×4, first 2 shown]
	s_waitcnt vmcnt(1) lgkmcnt(0)
	v_mul_f64 v[246:247], v[170:171], v[1:2]
	buffer_store_dword v1, off, s[24:27], 0 offset:52 ; 4-byte Folded Spill
	s_nop 0
	buffer_store_dword v2, off, s[24:27], 0 offset:56 ; 4-byte Folded Spill
	v_mul_f64 v[189:190], v[120:121], v[78:79]
	v_mul_f64 v[197:198], v[112:113], v[70:71]
	;; [unrolled: 1-line block ×4, first 2 shown]
	s_waitcnt vmcnt(2)
	v_fma_f64 v[148:149], v[148:149], v[235:236], -v[175:176]
	v_fma_f64 v[128:129], v[128:129], v[82:83], -v[179:180]
	;; [unrolled: 1-line block ×4, first 2 shown]
	v_mul_f64 v[195:196], v[114:115], v[70:71]
	v_mul_f64 v[201:202], v[144:145], v[74:75]
	;; [unrolled: 1-line block ×5, first 2 shown]
	v_fma_f64 v[150:151], v[150:151], v[235:236], v[177:178]
	v_fma_f64 v[130:131], v[130:131], v[82:83], v[181:182]
	;; [unrolled: 1-line block ×5, first 2 shown]
	v_fma_f64 v[187:188], v[144:145], v[90:91], -v[199:200]
	v_fma_f64 v[197:198], v[134:135], v[82:83], v[216:217]
	v_add_f64 v[134:135], v[128:129], v[152:153]
	v_add_f64 v[144:145], v[148:149], v[175:176]
	v_mul_f64 v[191:192], v[142:143], v[66:67]
	v_mul_f64 v[193:194], v[140:141], v[66:67]
	;; [unrolled: 1-line block ×6, first 2 shown]
	v_fma_f64 v[183:184], v[112:113], v[82:83], -v[195:196]
	v_fma_f64 v[189:190], v[146:147], v[90:91], v[201:202]
	v_fma_f64 v[195:196], v[132:133], v[82:83], -v[214:215]
	v_fma_f64 v[199:200], v[136:137], v[90:91], -v[218:219]
	v_fma_f64 v[201:202], v[138:139], v[90:91], v[220:221]
	v_add_f64 v[132:133], v[100:101], v[148:149]
	v_add_f64 v[136:137], v[150:151], -v[177:178]
	v_add_f64 v[138:139], v[130:131], -v[154:155]
	v_fma_f64 v[134:135], v[134:135], -0.5, v[100:101]
	v_fma_f64 v[100:101], v[144:145], -0.5, v[100:101]
	v_mul_f64 v[205:206], v[104:105], v[78:79]
	v_mul_f64 v[224:225], v[124:125], v[78:79]
	;; [unrolled: 1-line block ×4, first 2 shown]
	v_fma_f64 v[179:180], v[140:141], v[235:236], -v[191:192]
	v_fma_f64 v[181:182], v[142:143], v[235:236], v[193:194]
	v_fma_f64 v[112:113], v[156:157], v[64:65], -v[226:227]
	v_fma_f64 v[114:115], v[160:161], v[68:69], -v[230:231]
	v_fma_f64 v[120:121], v[162:163], v[68:69], v[240:241]
	v_fma_f64 v[122:123], v[166:167], v[72:73], v[244:245]
	v_add_f64 v[140:141], v[148:149], -v[128:129]
	v_add_f64 v[142:143], v[175:176], -v[152:153]
	;; [unrolled: 1-line block ×4, first 2 shown]
	v_add_f64 v[160:161], v[130:131], v[154:155]
	v_add_f64 v[162:163], v[128:129], -v[152:153]
	v_add_f64 v[166:167], v[150:151], v[177:178]
	v_add_f64 v[128:129], v[132:133], v[128:129]
	v_fma_f64 v[132:133], v[136:137], s[14:15], v[134:135]
	v_fma_f64 v[134:135], v[136:137], s[18:19], v[134:135]
	;; [unrolled: 1-line block ×4, first 2 shown]
	v_mul_f64 v[203:204], v[106:107], v[78:79]
	v_mul_f64 v[207:208], v[118:119], v[66:67]
	;; [unrolled: 1-line block ×4, first 2 shown]
	v_fma_f64 v[106:107], v[106:107], v[86:87], v[205:206]
	v_fma_f64 v[205:206], v[126:127], v[86:87], v[224:225]
	;; [unrolled: 1-line block ×3, first 2 shown]
	v_add_f64 v[158:159], v[102:103], v[150:151]
	v_add_f64 v[148:149], v[148:149], -v[175:176]
	v_add_f64 v[140:141], v[140:141], v[142:143]
	v_fma_f64 v[142:143], v[160:161], -0.5, v[102:103]
	v_add_f64 v[146:147], v[146:147], v[156:157]
	v_fma_f64 v[132:133], v[138:139], s[6:7], v[132:133]
	v_fma_f64 v[134:135], v[138:139], s[16:17], v[134:135]
	;; [unrolled: 1-line block ×4, first 2 shown]
	v_fma_f64 v[102:103], v[166:167], -0.5, v[102:103]
	v_fma_f64 v[104:105], v[104:105], v[86:87], -v[203:204]
	v_mul_f64 v[248:249], v[168:169], v[1:2]
	v_fma_f64 v[191:192], v[116:117], v[235:236], -v[207:208]
	v_fma_f64 v[193:194], v[118:119], v[235:236], v[209:210]
	v_fma_f64 v[116:117], v[164:165], v[72:73], -v[242:243]
	v_fma_f64 v[118:119], v[168:169], v[76:77], -v[246:247]
	v_add_f64 v[164:165], v[150:151], -v[130:131]
	v_add_f64 v[168:169], v[96:97], v[179:180]
	v_add_f64 v[156:157], v[158:159], v[130:131]
	;; [unrolled: 1-line block ×3, first 2 shown]
	v_fma_f64 v[152:153], v[148:149], s[18:19], v[142:143]
	v_fma_f64 v[132:133], v[140:141], s[12:13], v[132:133]
	;; [unrolled: 1-line block ×5, first 2 shown]
	v_add_f64 v[100:101], v[177:178], -v[154:155]
	v_fma_f64 v[134:135], v[148:149], s[14:15], v[142:143]
	v_fma_f64 v[138:139], v[162:163], s[14:15], v[102:103]
	v_add_f64 v[130:131], v[130:131], -v[150:151]
	v_add_f64 v[142:143], v[154:155], -v[177:178]
	v_fma_f64 v[102:103], v[162:163], s[18:19], v[102:103]
	v_fma_f64 v[203:204], v[124:125], v[86:87], -v[222:223]
	v_fma_f64 v[124:125], v[170:171], v[76:77], v[248:249]
	v_add_f64 v[170:171], v[183:184], v[187:188]
	v_add_f64 v[156:157], v[156:157], v[154:155]
	v_fma_f64 v[152:153], v[162:163], s[16:17], v[152:153]
	v_add_f64 v[146:147], v[168:169], v[183:184]
	v_add_f64 v[100:101], v[164:165], v[100:101]
	v_fma_f64 v[158:159], v[162:163], s[6:7], v[134:135]
	v_add_f64 v[162:163], v[130:131], v[142:143]
	v_fma_f64 v[102:103], v[148:149], s[6:7], v[102:103]
	v_add_f64 v[164:165], v[179:180], v[104:105]
	v_fma_f64 v[150:151], v[170:171], -0.5, v[96:97]
	v_add_f64 v[154:155], v[181:182], -v[106:107]
	v_fma_f64 v[160:161], v[148:149], s[16:17], v[138:139]
	v_add_f64 v[148:149], v[146:147], v[187:188]
	v_add_f64 v[168:169], v[185:186], -v[189:190]
	v_add_f64 v[130:131], v[156:157], v[177:178]
	v_fma_f64 v[134:135], v[100:101], s[12:13], v[152:153]
	v_fma_f64 v[146:147], v[162:163], s[12:13], v[102:103]
	v_fma_f64 v[96:97], v[164:165], -0.5, v[96:97]
	v_add_f64 v[102:103], v[179:180], -v[183:184]
	v_add_f64 v[152:153], v[104:105], -v[187:188]
	v_add_f64 v[156:157], v[98:99], v[181:182]
	v_fma_f64 v[166:167], v[154:155], s[14:15], v[150:151]
	v_fma_f64 v[138:139], v[100:101], s[12:13], v[158:159]
	v_fma_f64 v[142:143], v[162:163], s[12:13], v[160:161]
	v_fma_f64 v[150:151], v[154:155], s[18:19], v[150:151]
	v_add_f64 v[158:159], v[185:186], v[189:190]
	v_fma_f64 v[160:161], v[168:169], s[18:19], v[96:97]
	v_add_f64 v[162:163], v[183:184], -v[179:180]
	v_add_f64 v[164:165], v[187:188], -v[104:105]
	v_fma_f64 v[96:97], v[168:169], s[14:15], v[96:97]
	v_add_f64 v[102:103], v[102:103], v[152:153]
	v_add_f64 v[152:153], v[156:157], v[185:186]
	;; [unrolled: 1-line block ×3, first 2 shown]
	v_fma_f64 v[100:101], v[168:169], s[6:7], v[166:167]
	v_fma_f64 v[150:151], v[168:169], s[16:17], v[150:151]
	v_fma_f64 v[158:159], v[158:159], -0.5, v[98:99]
	v_add_f64 v[104:105], v[179:180], -v[104:105]
	v_fma_f64 v[160:161], v[154:155], s[6:7], v[160:161]
	v_add_f64 v[162:163], v[162:163], v[164:165]
	v_fma_f64 v[96:97], v[154:155], s[16:17], v[96:97]
	v_add_f64 v[154:155], v[181:182], v[106:107]
	v_add_f64 v[166:167], v[152:153], v[189:190]
	v_fma_f64 v[152:153], v[102:103], s[12:13], v[100:101]
	v_fma_f64 v[156:157], v[102:103], s[12:13], v[150:151]
	v_fma_f64 v[100:101], v[104:105], s[18:19], v[158:159]
	v_add_f64 v[102:103], v[183:184], -v[187:188]
	v_fma_f64 v[160:161], v[162:163], s[12:13], v[160:161]
	v_fma_f64 v[164:165], v[162:163], s[12:13], v[96:97]
	v_fma_f64 v[96:97], v[154:155], -0.5, v[98:99]
	v_add_f64 v[150:151], v[166:167], v[106:107]
	v_add_f64 v[98:99], v[181:182], -v[185:186]
	v_add_f64 v[154:155], v[106:107], -v[189:190]
	v_fma_f64 v[158:159], v[104:105], s[14:15], v[158:159]
	v_add_f64 v[162:163], v[92:93], v[191:192]
	v_add_f64 v[166:167], v[195:196], v[199:200]
	v_fma_f64 v[100:101], v[102:103], s[16:17], v[100:101]
	v_fma_f64 v[168:169], v[102:103], s[14:15], v[96:97]
	v_add_f64 v[170:171], v[185:186], -v[181:182]
	v_add_f64 v[106:107], v[189:190], -v[106:107]
	v_add_f64 v[98:99], v[98:99], v[154:155]
	v_fma_f64 v[158:159], v[102:103], s[6:7], v[158:159]
	v_fma_f64 v[96:97], v[102:103], s[18:19], v[96:97]
	v_add_f64 v[102:103], v[162:163], v[195:196]
	v_fma_f64 v[166:167], v[166:167], -0.5, v[92:93]
	v_add_f64 v[177:178], v[193:194], -v[205:206]
	v_add_f64 v[128:129], v[128:129], v[175:176]
	v_fma_f64 v[162:163], v[104:105], s[16:17], v[168:169]
	v_add_f64 v[106:107], v[170:171], v[106:107]
	v_fma_f64 v[154:155], v[98:99], s[12:13], v[100:101]
	v_fma_f64 v[158:159], v[98:99], s[12:13], v[158:159]
	;; [unrolled: 1-line block ×3, first 2 shown]
	v_add_f64 v[98:99], v[191:192], v[203:204]
	v_add_f64 v[100:101], v[102:103], v[199:200]
	v_fma_f64 v[102:103], v[177:178], s[14:15], v[166:167]
	v_add_f64 v[104:105], v[197:198], -v[201:202]
	v_add_f64 v[170:171], v[191:192], -v[195:196]
	;; [unrolled: 1-line block ×3, first 2 shown]
	v_fma_f64 v[179:180], v[177:178], s[18:19], v[166:167]
	v_fma_f64 v[162:163], v[106:107], s[12:13], v[162:163]
	v_fma_f64 v[92:93], v[98:99], -0.5, v[92:93]
	v_fma_f64 v[166:167], v[106:107], s[12:13], v[96:97]
	v_add_f64 v[168:169], v[100:101], v[203:204]
	v_fma_f64 v[96:97], v[104:105], s[6:7], v[102:103]
	v_add_f64 v[98:99], v[94:95], v[193:194]
	v_add_f64 v[100:101], v[197:198], v[201:202]
	;; [unrolled: 1-line block ×3, first 2 shown]
	v_fma_f64 v[106:107], v[104:105], s[16:17], v[179:180]
	v_fma_f64 v[170:171], v[104:105], s[18:19], v[92:93]
	v_add_f64 v[181:182], v[195:196], -v[191:192]
	v_add_f64 v[183:184], v[199:200], -v[203:204]
	v_fma_f64 v[92:93], v[104:105], s[14:15], v[92:93]
	v_add_f64 v[98:99], v[98:99], v[197:198]
	v_fma_f64 v[100:101], v[100:101], -0.5, v[94:95]
	v_add_f64 v[104:105], v[191:192], -v[203:204]
	v_fma_f64 v[179:180], v[102:103], s[12:13], v[106:107]
	v_add_f64 v[106:107], v[193:194], v[205:206]
	v_fma_f64 v[175:176], v[102:103], s[12:13], v[96:97]
	v_fma_f64 v[96:97], v[177:178], s[6:7], v[170:171]
	v_add_f64 v[102:103], v[181:182], v[183:184]
	v_fma_f64 v[92:93], v[177:178], s[16:17], v[92:93]
	v_add_f64 v[98:99], v[98:99], v[201:202]
	v_fma_f64 v[177:178], v[104:105], s[18:19], v[100:101]
	v_add_f64 v[181:182], v[195:196], -v[199:200]
	v_add_f64 v[185:186], v[193:194], -v[197:198]
	;; [unrolled: 1-line block ×3, first 2 shown]
	v_fma_f64 v[100:101], v[104:105], s[14:15], v[100:101]
	v_fma_f64 v[94:95], v[106:107], -0.5, v[94:95]
	v_fma_f64 v[183:184], v[102:103], s[12:13], v[96:97]
	v_fma_f64 v[187:188], v[102:103], s[12:13], v[92:93]
	v_add_f64 v[170:171], v[98:99], v[205:206]
	v_fma_f64 v[92:93], v[181:182], s[16:17], v[177:178]
	v_add_f64 v[96:97], v[114:115], v[116:117]
	v_add_f64 v[98:99], v[185:186], v[189:190]
	v_fma_f64 v[100:101], v[181:182], s[6:7], v[100:101]
	v_fma_f64 v[102:103], v[181:182], s[14:15], v[94:95]
	v_add_f64 v[106:107], v[197:198], -v[193:194]
	v_add_f64 v[185:186], v[201:202], -v[205:206]
	v_fma_f64 v[94:95], v[181:182], s[18:19], v[94:95]
	v_add_f64 v[189:190], v[112:113], v[118:119]
	v_fma_f64 v[96:97], v[96:97], -0.5, v[108:109]
	v_add_f64 v[191:192], v[126:127], -v[124:125]
	v_fma_f64 v[177:178], v[98:99], s[12:13], v[92:93]
	v_fma_f64 v[181:182], v[98:99], s[12:13], v[100:101]
	;; [unrolled: 1-line block ×3, first 2 shown]
	v_add_f64 v[98:99], v[106:107], v[185:186]
	v_fma_f64 v[94:95], v[104:105], s[6:7], v[94:95]
	v_add_f64 v[100:101], v[120:121], -v[122:123]
	v_fma_f64 v[102:103], v[189:190], -0.5, v[108:109]
	v_fma_f64 v[104:105], v[191:192], s[14:15], v[96:97]
	v_add_f64 v[106:107], v[112:113], -v[114:115]
	v_add_f64 v[193:194], v[118:119], -v[116:117]
	v_add_f64 v[195:196], v[120:121], v[122:123]
	v_fma_f64 v[185:186], v[98:99], s[12:13], v[92:93]
	v_fma_f64 v[92:93], v[191:192], s[18:19], v[96:97]
	v_fma_f64 v[189:190], v[98:99], s[12:13], v[94:95]
	v_add_f64 v[94:95], v[126:127], v[124:125]
	v_fma_f64 v[98:99], v[100:101], s[6:7], v[104:105]
	v_fma_f64 v[96:97], v[100:101], s[18:19], v[102:103]
	v_add_f64 v[104:105], v[106:107], v[193:194]
	v_fma_f64 v[106:107], v[195:196], -0.5, v[110:111]
	v_add_f64 v[193:194], v[112:113], -v[118:119]
	v_fma_f64 v[195:196], v[100:101], s[16:17], v[92:93]
	v_add_f64 v[92:93], v[114:115], -v[116:117]
	v_fma_f64 v[94:95], v[94:95], -0.5, v[110:111]
	v_add_f64 v[197:198], v[114:115], -v[112:113]
	v_add_f64 v[199:200], v[116:117], -v[118:119]
	v_fma_f64 v[100:101], v[100:101], s[14:15], v[102:103]
	v_add_f64 v[201:202], v[126:127], -v[120:121]
	v_fma_f64 v[102:103], v[193:194], s[18:19], v[106:107]
	;; [unrolled: 2-line block ×3, first 2 shown]
	v_fma_f64 v[205:206], v[92:93], s[14:15], v[94:95]
	v_add_f64 v[207:208], v[120:121], -v[126:127]
	v_add_f64 v[209:210], v[122:123], -v[124:125]
	v_fma_f64 v[94:95], v[92:93], s[18:19], v[94:95]
	v_fma_f64 v[96:97], v[191:192], s[6:7], v[96:97]
	v_add_f64 v[197:198], v[197:198], v[199:200]
	v_fma_f64 v[100:101], v[191:192], s[16:17], v[100:101]
	v_fma_f64 v[102:103], v[92:93], s[16:17], v[102:103]
	v_add_f64 v[191:192], v[201:202], v[203:204]
	;; [unrolled: 3-line block ×3, first 2 shown]
	v_fma_f64 v[193:194], v[193:194], s[6:7], v[94:95]
	v_fma_f64 v[92:93], v[104:105], s[12:13], v[98:99]
	v_fma_f64 v[104:105], v[104:105], s[12:13], v[195:196]
	v_fma_f64 v[96:97], v[197:198], s[12:13], v[96:97]
	v_fma_f64 v[100:101], v[197:198], s[12:13], v[100:101]
	v_fma_f64 v[94:95], v[191:192], s[12:13], v[102:103]
	v_fma_f64 v[106:107], v[191:192], s[12:13], v[106:107]
	v_fma_f64 v[98:99], v[201:202], s[12:13], v[199:200]
	v_fma_f64 v[102:103], v[201:202], s[12:13], v[193:194]
	s_waitcnt vmcnt(0)
	s_barrier
	ds_write_b128 v0, v[128:131]
	ds_write_b128 v0, v[132:135] offset:256
	ds_write_b128 v0, v[140:143] offset:512
	;; [unrolled: 1-line block ×3, first 2 shown]
	buffer_store_dword v0, off, s[24:27], 0 offset:48 ; 4-byte Folded Spill
	ds_write_b128 v0, v[136:139] offset:1024
	v_lshrrev_b32_e32 v0, 4, v174
	v_mul_u32_u24_e32 v0, 0x50, v0
	v_or_b32_e32 v0, v0, v172
	v_lshlrev_b32_e32 v255, 4, v0
	v_lshrrev_b32_e32 v0, 4, v173
	v_mul_u32_u24_e32 v0, 0x50, v0
	v_or_b32_e32 v0, v0, v172
	v_lshlrev_b32_e32 v242, 4, v0
	ds_write_b128 v255, v[148:151]
	ds_write_b128 v255, v[152:155] offset:256
	ds_write_b128 v255, v[160:163] offset:512
	;; [unrolled: 1-line block ×4, first 2 shown]
	ds_write_b128 v242, v[168:171]
	ds_write_b128 v242, v[175:178] offset:256
	ds_write_b128 v242, v[183:186] offset:512
	;; [unrolled: 1-line block ×4, first 2 shown]
	s_and_saveexec_b64 s[6:7], vcc
	s_cbranch_execz .LBB0_5
; %bb.4:
	v_add_f64 v[110:111], v[110:111], v[126:127]
	v_add_f64 v[108:109], v[108:109], v[112:113]
	;; [unrolled: 1-line block ×8, first 2 shown]
	ds_write_b128 v237, v[92:95] offset:19456
	ds_write_b128 v237, v[96:99] offset:19712
	;; [unrolled: 1-line block ×5, first 2 shown]
.LBB0_5:
	s_or_b64 exec, exec, s[6:7]
	v_mov_b32_e32 v109, s3
	s_add_u32 s20, s0, 0x5000
	s_movk_i32 s0, 0xf0
	v_mov_b32_e32 v108, s2
	s_addc_u32 s21, s1, 0
	v_mad_u64_u32 v[226:227], s[0:1], v7, s0, v[108:109]
	s_waitcnt vmcnt(0) lgkmcnt(0)
	s_barrier
	ds_read_b128 v[168:171], v237
	ds_read_b128 v[120:123], v237 offset:1280
	ds_read_b128 v[124:127], v237 offset:2560
	;; [unrolled: 1-line block ×15, first 2 shown]
	global_load_dwordx4 v[108:111], v[226:227], off offset:1072
	global_load_dwordx4 v[112:115], v[226:227], off offset:1056
	;; [unrolled: 1-line block ×4, first 2 shown]
	s_mov_b32 s2, 0x667f3bcd
	s_mov_b32 s3, 0xbfe6a09e
	;; [unrolled: 1-line block ×12, first 2 shown]
	s_waitcnt vmcnt(0) lgkmcnt(14)
	v_mul_f64 v[148:149], v[122:123], v[134:135]
	v_fma_f64 v[188:189], v[120:121], v[132:133], -v[148:149]
	v_mul_f64 v[120:121], v[120:121], v[134:135]
	v_fma_f64 v[190:191], v[122:123], v[132:133], v[120:121]
	s_waitcnt lgkmcnt(13)
	v_mul_f64 v[120:121], v[126:127], v[118:119]
	v_fma_f64 v[192:193], v[124:125], v[116:117], -v[120:121]
	v_mul_f64 v[120:121], v[124:125], v[118:119]
	v_fma_f64 v[194:195], v[126:127], v[116:117], v[120:121]
	s_waitcnt lgkmcnt(12)
	;; [unrolled: 5-line block ×3, first 2 shown]
	v_mul_f64 v[120:121], v[138:139], v[110:111]
	v_fma_f64 v[196:197], v[136:137], v[108:109], -v[120:121]
	v_mul_f64 v[120:121], v[136:137], v[110:111]
	v_fma_f64 v[198:199], v[138:139], v[108:109], v[120:121]
	global_load_dwordx4 v[120:123], v[226:227], off offset:1136
	global_load_dwordx4 v[124:127], v[226:227], off offset:1120
	;; [unrolled: 1-line block ×4, first 2 shown]
	s_waitcnt vmcnt(0) lgkmcnt(10)
	v_mul_f64 v[136:137], v[142:143], v[150:151]
	v_fma_f64 v[204:205], v[140:141], v[148:149], -v[136:137]
	v_mul_f64 v[136:137], v[140:141], v[150:151]
	v_fma_f64 v[206:207], v[142:143], v[148:149], v[136:137]
	s_waitcnt lgkmcnt(9)
	v_mul_f64 v[136:137], v[146:147], v[130:131]
	v_fma_f64 v[208:209], v[144:145], v[128:129], -v[136:137]
	v_mul_f64 v[136:137], v[144:145], v[130:131]
	v_fma_f64 v[210:211], v[146:147], v[128:129], v[136:137]
	s_waitcnt lgkmcnt(8)
	;; [unrolled: 5-line block ×3, first 2 shown]
	v_mul_f64 v[136:137], v[158:159], v[122:123]
	v_fma_f64 v[228:229], v[156:157], v[120:121], -v[136:137]
	v_mul_f64 v[136:137], v[156:157], v[122:123]
	v_fma_f64 v[230:231], v[158:159], v[120:121], v[136:137]
	global_load_dwordx4 v[136:139], v[226:227], off offset:1200
	global_load_dwordx4 v[140:143], v[226:227], off offset:1184
	;; [unrolled: 1-line block ×4, first 2 shown]
	s_waitcnt vmcnt(0) lgkmcnt(6)
	v_mul_f64 v[152:153], v[166:167], v[162:163]
	v_fma_f64 v[243:244], v[164:165], v[160:161], -v[152:153]
	v_mul_f64 v[152:153], v[164:165], v[162:163]
	v_fma_f64 v[245:246], v[166:167], v[160:161], v[152:153]
	s_waitcnt lgkmcnt(5)
	v_mul_f64 v[152:153], v[216:217], v[146:147]
	v_fma_f64 v[247:248], v[214:215], v[144:145], -v[152:153]
	v_mul_f64 v[152:153], v[214:215], v[146:147]
	v_fma_f64 v[214:215], v[216:217], v[144:145], v[152:153]
	s_waitcnt lgkmcnt(4)
	v_mul_f64 v[152:153], v[220:221], v[142:143]
	v_add_f64 v[214:215], v[194:195], -v[214:215]
	v_fma_f64 v[216:217], v[218:219], v[140:141], -v[152:153]
	v_mul_f64 v[152:153], v[218:219], v[142:143]
	v_fma_f64 v[194:195], v[194:195], 2.0, -v[214:215]
	v_add_f64 v[216:217], v[184:185], -v[216:217]
	v_fma_f64 v[218:219], v[220:221], v[140:141], v[152:153]
	s_waitcnt lgkmcnt(3)
	v_mul_f64 v[152:153], v[224:225], v[138:139]
	v_fma_f64 v[184:185], v[184:185], 2.0, -v[216:217]
	v_add_f64 v[218:219], v[186:187], -v[218:219]
	v_fma_f64 v[220:221], v[222:223], v[136:137], -v[152:153]
	v_mul_f64 v[152:153], v[222:223], v[138:139]
	v_fma_f64 v[186:187], v[186:187], 2.0, -v[218:219]
	v_add_f64 v[220:221], v[196:197], -v[220:221]
	v_fma_f64 v[222:223], v[224:225], v[136:137], v[152:153]
	global_load_dwordx4 v[152:155], v[226:227], off offset:1248
	global_load_dwordx4 v[156:159], v[226:227], off offset:1232
	;; [unrolled: 1-line block ×3, first 2 shown]
	v_add_f64 v[226:227], v[170:171], -v[230:231]
	v_add_f64 v[230:231], v[188:189], -v[243:244]
	;; [unrolled: 1-line block ×3, first 2 shown]
	v_fma_f64 v[196:197], v[196:197], 2.0, -v[220:221]
	v_add_f64 v[222:223], v[198:199], -v[222:223]
	v_fma_f64 v[170:171], v[170:171], 2.0, -v[226:227]
	v_add_f64 v[220:221], v[226:227], v[220:221]
	v_fma_f64 v[188:189], v[188:189], 2.0, -v[230:231]
	v_fma_f64 v[190:191], v[190:191], 2.0, -v[243:244]
	v_fma_f64 v[198:199], v[198:199], 2.0, -v[222:223]
	v_fma_f64 v[226:227], v[226:227], 2.0, -v[220:221]
	v_add_f64 v[198:199], v[170:171], -v[198:199]
	v_fma_f64 v[170:171], v[170:171], 2.0, -v[198:199]
	s_waitcnt vmcnt(0) lgkmcnt(2)
	v_mul_f64 v[224:225], v[182:183], v[166:167]
	v_fma_f64 v[224:225], v[180:181], v[164:165], -v[224:225]
	v_mul_f64 v[180:181], v[180:181], v[166:167]
	v_add_f64 v[224:225], v[204:205], -v[224:225]
	v_fma_f64 v[180:181], v[182:183], v[164:165], v[180:181]
	s_waitcnt lgkmcnt(1)
	v_mul_f64 v[182:183], v[178:179], v[158:159]
	v_fma_f64 v[204:205], v[204:205], 2.0, -v[224:225]
	v_add_f64 v[180:181], v[206:207], -v[180:181]
	v_fma_f64 v[182:183], v[176:177], v[156:157], -v[182:183]
	v_mul_f64 v[176:177], v[176:177], v[158:159]
	v_add_f64 v[224:225], v[243:244], v[224:225]
	v_add_f64 v[204:205], v[188:189], -v[204:205]
	v_fma_f64 v[206:207], v[206:207], 2.0, -v[180:181]
	v_add_f64 v[182:183], v[208:209], -v[182:183]
	v_fma_f64 v[176:177], v[178:179], v[156:157], v[176:177]
	s_waitcnt lgkmcnt(0)
	v_mul_f64 v[178:179], v[174:175], v[154:155]
	v_add_f64 v[180:181], v[230:231], -v[180:181]
	v_fma_f64 v[243:244], v[243:244], 2.0, -v[224:225]
	v_fma_f64 v[188:189], v[188:189], 2.0, -v[204:205]
	v_add_f64 v[206:207], v[190:191], -v[206:207]
	v_fma_f64 v[208:209], v[208:209], 2.0, -v[182:183]
	v_add_f64 v[176:177], v[210:211], -v[176:177]
	v_fma_f64 v[178:179], v[172:173], v[152:153], -v[178:179]
	v_mul_f64 v[172:173], v[172:173], v[154:155]
	v_add_f64 v[182:183], v[214:215], v[182:183]
	v_fma_f64 v[230:231], v[230:231], 2.0, -v[180:181]
	v_fma_f64 v[190:191], v[190:191], 2.0, -v[206:207]
	v_fma_f64 v[210:211], v[210:211], 2.0, -v[176:177]
	v_add_f64 v[178:179], v[200:201], -v[178:179]
	v_fma_f64 v[172:173], v[174:175], v[152:153], v[172:173]
	v_add_f64 v[174:175], v[168:169], -v[228:229]
	v_add_f64 v[228:229], v[192:193], -v[247:248]
	v_fma_f64 v[214:215], v[214:215], 2.0, -v[182:183]
	v_add_f64 v[210:211], v[194:195], -v[210:211]
	v_fma_f64 v[200:201], v[200:201], 2.0, -v[178:179]
	;; [unrolled: 2-line block ×3, first 2 shown]
	v_fma_f64 v[192:193], v[192:193], 2.0, -v[228:229]
	v_add_f64 v[222:223], v[174:175], -v[222:223]
	v_add_f64 v[176:177], v[228:229], -v[176:177]
	v_add_f64 v[178:179], v[218:219], v[178:179]
	v_fma_f64 v[194:195], v[194:195], 2.0, -v[210:211]
	v_add_f64 v[200:201], v[184:185], -v[200:201]
	v_fma_f64 v[202:203], v[202:203], 2.0, -v[172:173]
	v_add_f64 v[196:197], v[168:169], -v[196:197]
	v_add_f64 v[208:209], v[192:193], -v[208:209]
	v_fma_f64 v[174:175], v[174:175], 2.0, -v[222:223]
	v_fma_f64 v[228:229], v[228:229], 2.0, -v[176:177]
	v_add_f64 v[172:173], v[216:217], -v[172:173]
	v_add_f64 v[247:248], v[170:171], -v[194:195]
	v_fma_f64 v[184:185], v[184:185], 2.0, -v[200:201]
	v_add_f64 v[202:203], v[186:187], -v[202:203]
	v_fma_f64 v[168:169], v[168:169], 2.0, -v[196:197]
	v_fma_f64 v[192:193], v[192:193], 2.0, -v[208:209]
	;; [unrolled: 1-line block ×3, first 2 shown]
	v_add_f64 v[251:252], v[196:197], -v[210:211]
	v_fma_f64 v[216:217], v[216:217], 2.0, -v[172:173]
	v_fma_f64 v[194:195], v[170:171], 2.0, -v[247:248]
	v_fma_f64 v[170:171], v[214:215], s[2:3], v[226:227]
	v_fma_f64 v[186:187], v[186:187], 2.0, -v[202:203]
	v_add_f64 v[253:254], v[198:199], v[208:209]
	v_add_f64 v[245:246], v[168:169], -v[192:193]
	v_fma_f64 v[196:197], v[196:197], 2.0, -v[251:252]
	v_fma_f64 v[198:199], v[198:199], 2.0, -v[253:254]
	;; [unrolled: 1-line block ×3, first 2 shown]
	v_fma_f64 v[168:169], v[228:229], s[2:3], v[174:175]
	v_fma_f64 v[228:229], v[228:229], s[6:7], v[170:171]
	;; [unrolled: 1-line block ×7, first 2 shown]
	v_fma_f64 v[226:227], v[226:227], 2.0, -v[228:229]
	v_fma_f64 v[249:250], v[174:175], 2.0, -v[214:215]
	v_fma_f64 v[233:234], v[182:183], s[2:3], v[168:169]
	v_fma_f64 v[210:211], v[220:221], 2.0, -v[238:239]
	v_add_f64 v[220:221], v[188:189], -v[184:185]
	v_fma_f64 v[174:175], v[216:217], s[2:3], v[230:231]
	v_fma_f64 v[216:217], v[216:217], s[6:7], v[176:177]
	v_fma_f64 v[208:209], v[222:223], 2.0, -v[233:234]
	v_add_f64 v[222:223], v[190:191], -v[186:187]
	v_fma_f64 v[168:169], v[188:189], 2.0, -v[220:221]
	v_fma_f64 v[188:189], v[178:179], s[6:7], v[224:225]
	v_fma_f64 v[218:219], v[218:219], s[2:3], v[174:175]
	v_fma_f64 v[176:177], v[243:244], 2.0, -v[216:217]
	v_add_f64 v[243:244], v[206:207], v[200:201]
	v_fma_f64 v[174:175], v[172:173], s[6:7], v[180:181]
	v_fma_f64 v[170:171], v[190:191], 2.0, -v[222:223]
	v_add_f64 v[168:169], v[192:193], -v[168:169]
	v_fma_f64 v[0:1], v[172:173], s[6:7], v[188:189]
	v_fma_f64 v[182:183], v[230:231], 2.0, -v[218:219]
	v_add_f64 v[230:231], v[204:205], -v[202:203]
	v_fma_f64 v[184:185], v[206:207], 2.0, -v[243:244]
	v_fma_f64 v[240:241], v[178:179], s[2:3], v[174:175]
	v_add_f64 v[202:203], v[247:248], v[220:221]
	v_add_f64 v[170:171], v[194:195], -v[170:171]
	v_fma_f64 v[172:173], v[192:193], 2.0, -v[168:169]
	v_fma_f64 v[200:201], v[224:225], 2.0, -v[0:1]
	v_fma_f64 v[178:179], v[182:183], s[16:17], v[249:250]
	v_fma_f64 v[186:187], v[204:205], 2.0, -v[230:231]
	v_fma_f64 v[190:191], v[184:185], s[2:3], v[198:199]
	;; [unrolled: 2-line block ×4, first 2 shown]
	v_fma_f64 v[194:195], v[200:201], s[12:13], v[210:211]
	v_fma_f64 v[176:177], v[176:177], s[12:13], v[178:179]
	;; [unrolled: 1-line block ×6, first 2 shown]
	v_fma_f64 v[206:207], v[247:248], 2.0, -v[202:203]
	v_fma_f64 v[220:221], v[230:231], s[6:7], v[220:221]
	v_fma_f64 v[194:195], v[2:3], s[18:19], v[194:195]
	;; [unrolled: 1-line block ×4, first 2 shown]
	v_fma_f64 v[190:191], v[198:199], 2.0, -v[186:187]
	v_fma_f64 v[192:193], v[200:201], s[16:17], v[192:193]
	v_add_f64 v[200:201], v[245:246], -v[222:223]
	v_fma_f64 v[182:183], v[226:227], 2.0, -v[178:179]
	v_fma_f64 v[180:181], v[249:250], 2.0, -v[176:177]
	;; [unrolled: 1-line block ×3, first 2 shown]
	v_fma_f64 v[210:211], v[216:217], s[14:15], v[228:229]
	v_fma_f64 v[188:189], v[196:197], 2.0, -v[184:185]
	v_fma_f64 v[224:225], v[253:254], 2.0, -v[220:221]
	;; [unrolled: 1-line block ×3, first 2 shown]
	v_fma_f64 v[208:209], v[216:217], s[16:17], v[2:3]
	v_fma_f64 v[2:3], v[230:231], s[6:7], v[251:252]
	v_fma_f64 v[204:205], v[245:246], 2.0, -v[200:201]
	v_fma_f64 v[210:211], v[218:219], s[18:19], v[210:211]
	v_fma_f64 v[214:215], v[214:215], 2.0, -v[208:209]
	v_fma_f64 v[218:219], v[243:244], s[2:3], v[2:3]
	v_fma_f64 v[2:3], v[240:241], s[18:19], v[233:234]
	v_fma_f64 v[216:217], v[228:229], 2.0, -v[210:211]
	v_fma_f64 v[228:229], v[0:1], s[18:19], v[238:239]
	v_fma_f64 v[222:223], v[251:252], 2.0, -v[218:219]
	v_fma_f64 v[226:227], v[0:1], s[12:13], v[2:3]
	v_lshlrev_b32_e32 v2, 4, v7
	v_mov_b32_e32 v0, s21
	v_fma_f64 v[228:229], v[240:241], s[14:15], v[228:229]
	v_fma_f64 v[243:244], v[233:234], 2.0, -v[226:227]
	v_fma_f64 v[245:246], v[238:239], 2.0, -v[228:229]
	ds_write_b128 v237, v[172:175]
	ds_write_b128 v237, v[180:183] offset:1280
	ds_write_b128 v237, v[188:191] offset:2560
	;; [unrolled: 1-line block ×15, first 2 shown]
	s_waitcnt lgkmcnt(0)
	s_barrier
	global_load_dwordx4 v[174:177], v2, s[20:21]
	ds_read_b128 v[170:173], v237
	v_add_co_u32_e64 v168, s[0:1], s20, v2
	v_addc_co_u32_e64 v169, s[0:1], 0, v0, s[0:1]
	s_movk_i32 s0, 0x1000
	buffer_store_dword v7, off, s[24:27], 0 offset:8 ; 4-byte Folded Spill
	s_waitcnt vmcnt(1) lgkmcnt(0)
	v_mul_f64 v[0:1], v[172:173], v[176:177]
	v_fma_f64 v[178:179], v[170:171], v[174:175], -v[0:1]
	v_mul_f64 v[0:1], v[170:171], v[176:177]
	v_fma_f64 v[180:181], v[172:173], v[174:175], v[0:1]
	global_load_dwordx4 v[174:177], v2, s[20:21] offset:1280
	ds_read_b128 v[170:173], v237 offset:1280
	ds_write_b128 v237, v[178:181]
	s_waitcnt vmcnt(0) lgkmcnt(1)
	v_mul_f64 v[0:1], v[172:173], v[176:177]
	v_fma_f64 v[178:179], v[170:171], v[174:175], -v[0:1]
	v_mul_f64 v[0:1], v[170:171], v[176:177]
	v_fma_f64 v[180:181], v[172:173], v[174:175], v[0:1]
	global_load_dwordx4 v[174:177], v2, s[20:21] offset:2560
	ds_read_b128 v[170:173], v237 offset:2560
	ds_write_b128 v237, v[178:181] offset:1280
	s_waitcnt vmcnt(0) lgkmcnt(1)
	v_mul_f64 v[0:1], v[172:173], v[176:177]
	v_fma_f64 v[178:179], v[170:171], v[174:175], -v[0:1]
	v_mul_f64 v[0:1], v[170:171], v[176:177]
	v_fma_f64 v[180:181], v[172:173], v[174:175], v[0:1]
	global_load_dwordx4 v[174:177], v2, s[20:21] offset:3840
	ds_read_b128 v[170:173], v237 offset:3840
	ds_write_b128 v237, v[178:181] offset:2560
	s_waitcnt vmcnt(0) lgkmcnt(1)
	v_mul_f64 v[0:1], v[172:173], v[176:177]
	v_fma_f64 v[178:179], v[170:171], v[174:175], -v[0:1]
	v_mul_f64 v[0:1], v[170:171], v[176:177]
	v_fma_f64 v[180:181], v[172:173], v[174:175], v[0:1]
	v_add_co_u32_e64 v0, s[0:1], s0, v168
	v_addc_co_u32_e64 v1, s[0:1], 0, v169, s[0:1]
	global_load_dwordx4 v[174:177], v[0:1], off offset:1024
	ds_read_b128 v[170:173], v237 offset:5120
	s_movk_i32 s0, 0x2000
	ds_write_b128 v237, v[178:181] offset:3840
	s_waitcnt vmcnt(0) lgkmcnt(1)
	v_mul_f64 v[2:3], v[172:173], v[176:177]
	v_fma_f64 v[178:179], v[170:171], v[174:175], -v[2:3]
	v_mul_f64 v[2:3], v[170:171], v[176:177]
	v_fma_f64 v[180:181], v[172:173], v[174:175], v[2:3]
	global_load_dwordx4 v[174:177], v[0:1], off offset:2304
	ds_read_b128 v[170:173], v237 offset:6400
	ds_write_b128 v237, v[178:181] offset:5120
	s_waitcnt vmcnt(0) lgkmcnt(1)
	v_mul_f64 v[2:3], v[172:173], v[176:177]
	v_fma_f64 v[178:179], v[170:171], v[174:175], -v[2:3]
	v_mul_f64 v[2:3], v[170:171], v[176:177]
	v_fma_f64 v[180:181], v[172:173], v[174:175], v[2:3]
	global_load_dwordx4 v[174:177], v[0:1], off offset:3584
	ds_read_b128 v[170:173], v237 offset:7680
	ds_write_b128 v237, v[178:181] offset:6400
	s_waitcnt vmcnt(0) lgkmcnt(1)
	v_mul_f64 v[0:1], v[172:173], v[176:177]
	v_fma_f64 v[178:179], v[170:171], v[174:175], -v[0:1]
	v_mul_f64 v[0:1], v[170:171], v[176:177]
	v_fma_f64 v[180:181], v[172:173], v[174:175], v[0:1]
	v_add_co_u32_e64 v0, s[0:1], s0, v168
	v_addc_co_u32_e64 v1, s[0:1], 0, v169, s[0:1]
	global_load_dwordx4 v[174:177], v[0:1], off offset:768
	ds_read_b128 v[170:173], v237 offset:8960
	s_movk_i32 s0, 0x3000
	ds_write_b128 v237, v[178:181] offset:7680
	s_waitcnt vmcnt(0) lgkmcnt(1)
	v_mul_f64 v[2:3], v[172:173], v[176:177]
	v_fma_f64 v[178:179], v[170:171], v[174:175], -v[2:3]
	v_mul_f64 v[2:3], v[170:171], v[176:177]
	v_fma_f64 v[180:181], v[172:173], v[174:175], v[2:3]
	global_load_dwordx4 v[174:177], v213, s[20:21]
	ds_read_b128 v[170:173], v237 offset:10240
	ds_write_b128 v237, v[178:181] offset:8960
	s_waitcnt vmcnt(0) lgkmcnt(1)
	v_mul_f64 v[2:3], v[172:173], v[176:177]
	v_fma_f64 v[178:179], v[170:171], v[174:175], -v[2:3]
	v_mul_f64 v[2:3], v[170:171], v[176:177]
	v_fma_f64 v[180:181], v[172:173], v[174:175], v[2:3]
	global_load_dwordx4 v[174:177], v[0:1], off offset:3328
	ds_read_b128 v[170:173], v237 offset:11520
	ds_write_b128 v237, v[178:181] offset:10240
	s_waitcnt vmcnt(0) lgkmcnt(1)
	v_mul_f64 v[0:1], v[172:173], v[176:177]
	v_fma_f64 v[178:179], v[170:171], v[174:175], -v[0:1]
	v_mul_f64 v[0:1], v[170:171], v[176:177]
	v_fma_f64 v[180:181], v[172:173], v[174:175], v[0:1]
	v_add_co_u32_e64 v0, s[0:1], s0, v168
	v_addc_co_u32_e64 v1, s[0:1], 0, v169, s[0:1]
	global_load_dwordx4 v[174:177], v[0:1], off offset:512
	ds_read_b128 v[170:173], v237 offset:12800
	s_movk_i32 s0, 0x4000
	ds_write_b128 v237, v[178:181] offset:11520
	s_waitcnt vmcnt(0) lgkmcnt(1)
	v_mul_f64 v[2:3], v[172:173], v[176:177]
	v_fma_f64 v[178:179], v[170:171], v[174:175], -v[2:3]
	v_mul_f64 v[2:3], v[170:171], v[176:177]
	v_fma_f64 v[180:181], v[172:173], v[174:175], v[2:3]
	global_load_dwordx4 v[174:177], v[0:1], off offset:1792
	ds_read_b128 v[170:173], v237 offset:14080
	ds_write_b128 v237, v[178:181] offset:12800
	s_waitcnt vmcnt(0) lgkmcnt(1)
	v_mul_f64 v[2:3], v[172:173], v[176:177]
	v_fma_f64 v[178:179], v[170:171], v[174:175], -v[2:3]
	v_mul_f64 v[2:3], v[170:171], v[176:177]
	v_fma_f64 v[180:181], v[172:173], v[174:175], v[2:3]
	global_load_dwordx4 v[174:177], v[0:1], off offset:3072
	ds_read_b128 v[170:173], v237 offset:15360
	ds_write_b128 v237, v[178:181] offset:14080
	s_waitcnt vmcnt(0) lgkmcnt(1)
	v_mul_f64 v[0:1], v[172:173], v[176:177]
	v_fma_f64 v[178:179], v[170:171], v[174:175], -v[0:1]
	v_mul_f64 v[0:1], v[170:171], v[176:177]
	v_fma_f64 v[180:181], v[172:173], v[174:175], v[0:1]
	v_add_co_u32_e64 v0, s[0:1], s0, v168
	v_addc_co_u32_e64 v1, s[0:1], 0, v169, s[0:1]
	global_load_dwordx4 v[174:177], v[0:1], off offset:256
	ds_read_b128 v[170:173], v237 offset:16640
	ds_write_b128 v237, v[178:181] offset:15360
	s_waitcnt vmcnt(0) lgkmcnt(1)
	v_mul_f64 v[2:3], v[172:173], v[176:177]
	v_fma_f64 v[168:169], v[170:171], v[174:175], -v[2:3]
	v_mul_f64 v[2:3], v[170:171], v[176:177]
	v_fma_f64 v[170:171], v[172:173], v[174:175], v[2:3]
	global_load_dwordx4 v[172:175], v[0:1], off offset:1536
	ds_write_b128 v237, v[168:171] offset:16640
	ds_read_b128 v[168:171], v237 offset:17920
	s_waitcnt vmcnt(0) lgkmcnt(0)
	v_mul_f64 v[2:3], v[170:171], v[174:175]
	v_fma_f64 v[176:177], v[168:169], v[172:173], -v[2:3]
	v_mul_f64 v[2:3], v[168:169], v[174:175]
	v_fma_f64 v[178:179], v[170:171], v[172:173], v[2:3]
	global_load_dwordx4 v[172:175], v[0:1], off offset:2816
	ds_read_b128 v[168:171], v237 offset:19200
	ds_write_b128 v237, v[176:179] offset:17920
	s_waitcnt vmcnt(0) lgkmcnt(1)
	v_mul_f64 v[0:1], v[170:171], v[174:175]
	v_fma_f64 v[176:177], v[168:169], v[172:173], -v[0:1]
	v_mul_f64 v[0:1], v[168:169], v[174:175]
	v_fma_f64 v[178:179], v[170:171], v[172:173], v[0:1]
	ds_write_b128 v237, v[176:179] offset:19200
	s_waitcnt lgkmcnt(0)
	s_barrier
	ds_read_b128 v[168:171], v237
	ds_read_b128 v[172:175], v237 offset:1280
	ds_read_b128 v[176:179], v237 offset:2560
	;; [unrolled: 1-line block ×15, first 2 shown]
	s_waitcnt lgkmcnt(7)
	v_add_f64 v[0:1], v[168:169], -v[200:201]
	v_add_f64 v[2:3], v[170:171], -v[202:203]
	s_waitcnt lgkmcnt(3)
	v_add_f64 v[200:201], v[184:185], -v[217:218]
	v_add_f64 v[202:203], v[186:187], -v[219:220]
	;; [unrolled: 1-line block ×4, first 2 shown]
	s_waitcnt lgkmcnt(1)
	v_add_f64 v[217:218], v[192:193], -v[225:226]
	v_add_f64 v[219:220], v[194:195], -v[227:228]
	v_fma_f64 v[168:169], v[168:169], 2.0, -v[0:1]
	v_fma_f64 v[170:171], v[170:171], 2.0, -v[2:3]
	;; [unrolled: 1-line block ×8, first 2 shown]
	v_add_f64 v[204:205], v[172:173], -v[204:205]
	v_add_f64 v[206:207], v[174:175], -v[206:207]
	;; [unrolled: 1-line block ×6, first 2 shown]
	s_waitcnt lgkmcnt(0)
	v_add_f64 v[225:226], v[196:197], -v[243:244]
	v_add_f64 v[227:228], v[198:199], -v[245:246]
	;; [unrolled: 1-line block ×4, first 2 shown]
	v_add_f64 v[202:203], v[0:1], v[202:203]
	v_add_f64 v[200:201], v[2:3], -v[200:201]
	v_add_f64 v[192:193], v[176:177], -v[192:193]
	;; [unrolled: 1-line block ×3, first 2 shown]
	v_add_f64 v[219:220], v[208:209], v[219:220]
	v_add_f64 v[217:218], v[210:211], -v[217:218]
	v_fma_f64 v[172:173], v[172:173], 2.0, -v[204:205]
	v_fma_f64 v[174:175], v[174:175], 2.0, -v[206:207]
	;; [unrolled: 1-line block ×16, first 2 shown]
	v_add_f64 v[188:189], v[172:173], -v[188:189]
	v_add_f64 v[190:191], v[174:175], -v[190:191]
	v_add_f64 v[223:224], v[204:205], v[223:224]
	v_add_f64 v[221:222], v[206:207], -v[221:222]
	v_add_f64 v[196:197], v[180:181], -v[196:197]
	;; [unrolled: 1-line block ×3, first 2 shown]
	v_add_f64 v[227:228], v[213:214], v[227:228]
	v_add_f64 v[225:226], v[215:216], -v[225:226]
	v_add_f64 v[229:230], v[168:169], -v[176:177]
	;; [unrolled: 1-line block ×3, first 2 shown]
	v_fma_f64 v[176:177], v[208:209], s[2:3], v[0:1]
	v_fma_f64 v[178:179], v[210:211], s[2:3], v[2:3]
	v_fma_f64 v[172:173], v[172:173], 2.0, -v[188:189]
	v_fma_f64 v[174:175], v[174:175], 2.0, -v[190:191]
	;; [unrolled: 1-line block ×8, first 2 shown]
	v_fma_f64 v[238:239], v[210:211], s[6:7], v[176:177]
	v_fma_f64 v[240:241], v[208:209], s[2:3], v[178:179]
	v_fma_f64 v[176:177], v[219:220], s[6:7], v[202:203]
	v_fma_f64 v[178:179], v[217:218], s[6:7], v[200:201]
	v_add_f64 v[210:211], v[172:173], -v[180:181]
	v_fma_f64 v[168:169], v[168:169], 2.0, -v[229:230]
	v_fma_f64 v[170:171], v[170:171], 2.0, -v[233:234]
	v_add_f64 v[243:244], v[184:185], v[194:195]
	v_fma_f64 v[0:1], v[0:1], 2.0, -v[238:239]
	v_fma_f64 v[2:3], v[2:3], 2.0, -v[240:241]
	v_fma_f64 v[247:248], v[217:218], s[6:7], v[176:177]
	v_fma_f64 v[249:250], v[219:220], s[2:3], v[178:179]
	v_add_f64 v[217:218], v[174:175], -v[182:183]
	v_fma_f64 v[176:177], v[213:214], s[2:3], v[204:205]
	v_fma_f64 v[178:179], v[215:216], s[2:3], v[206:207]
	v_fma_f64 v[172:173], v[172:173], 2.0, -v[210:211]
	v_add_f64 v[245:246], v[186:187], -v[192:193]
	v_add_f64 v[251:252], v[188:189], v[198:199]
	v_add_f64 v[253:254], v[190:191], -v[196:197]
	v_fma_f64 v[192:193], v[184:185], 2.0, -v[243:244]
	v_fma_f64 v[174:175], v[174:175], 2.0, -v[217:218]
	v_fma_f64 v[215:216], v[215:216], s[6:7], v[176:177]
	v_fma_f64 v[213:214], v[213:214], s[2:3], v[178:179]
	;; [unrolled: 1-line block ×4, first 2 shown]
	v_add_f64 v[172:173], v[168:169], -v[172:173]
	v_fma_f64 v[194:195], v[186:187], 2.0, -v[245:246]
	v_fma_f64 v[196:197], v[188:189], 2.0, -v[251:252]
	v_add_f64 v[174:175], v[170:171], -v[174:175]
	v_fma_f64 v[182:183], v[204:205], 2.0, -v[215:216]
	v_fma_f64 v[180:181], v[206:207], 2.0, -v[213:214]
	v_fma_f64 v[231:232], v[225:226], s[6:7], v[176:177]
	v_fma_f64 v[4:5], v[227:228], s[2:3], v[178:179]
	v_fma_f64 v[176:177], v[168:169], 2.0, -v[172:173]
	v_fma_f64 v[188:189], v[190:191], 2.0, -v[253:254]
	;; [unrolled: 1-line block ×4, first 2 shown]
	v_fma_f64 v[168:169], v[182:183], s[16:17], v[0:1]
	v_fma_f64 v[170:171], v[180:181], s[16:17], v[2:3]
	v_fma_f64 v[208:209], v[200:201], 2.0, -v[249:250]
	v_fma_f64 v[6:7], v[223:224], 2.0, -v[231:232]
	;; [unrolled: 1-line block ×3, first 2 shown]
	v_add_f64 v[204:205], v[229:230], v[217:218]
	v_add_f64 v[206:207], v[233:234], -v[210:211]
	v_fma_f64 v[180:181], v[180:181], s[14:15], v[168:169]
	v_fma_f64 v[182:183], v[182:183], s[12:13], v[170:171]
	s_barrier
	v_fma_f64 v[210:211], v[233:234], 2.0, -v[206:207]
	v_fma_f64 v[184:185], v[0:1], 2.0, -v[180:181]
	;; [unrolled: 1-line block ×3, first 2 shown]
	v_fma_f64 v[0:1], v[196:197], s[2:3], v[192:193]
	v_fma_f64 v[2:3], v[188:189], s[2:3], v[194:195]
	;; [unrolled: 1-line block ×6, first 2 shown]
	v_fma_f64 v[192:193], v[192:193], 2.0, -v[188:189]
	v_fma_f64 v[194:195], v[194:195], 2.0, -v[190:191]
	v_fma_f64 v[196:197], v[198:199], s[18:19], v[0:1]
	v_fma_f64 v[198:199], v[6:7], s[16:17], v[2:3]
	;; [unrolled: 1-line block ×4, first 2 shown]
	v_fma_f64 v[200:201], v[202:203], 2.0, -v[196:197]
	v_fma_f64 v[202:203], v[208:209], 2.0, -v[198:199]
	v_fma_f64 v[213:214], v[213:214], s[18:19], v[0:1]
	v_fma_f64 v[215:216], v[215:216], s[16:17], v[2:3]
	;; [unrolled: 1-line block ×4, first 2 shown]
	v_fma_f64 v[208:209], v[229:230], 2.0, -v[204:205]
	v_fma_f64 v[217:218], v[238:239], 2.0, -v[213:214]
	;; [unrolled: 1-line block ×3, first 2 shown]
	v_fma_f64 v[221:222], v[253:254], s[6:7], v[0:1]
	v_fma_f64 v[223:224], v[251:252], s[2:3], v[2:3]
	v_fma_f64 v[0:1], v[231:232], s[18:19], v[247:248]
	v_fma_f64 v[2:3], v[4:5], s[18:19], v[249:250]
	v_fma_f64 v[225:226], v[243:244], 2.0, -v[221:222]
	v_fma_f64 v[227:228], v[245:246], 2.0, -v[223:224]
	v_fma_f64 v[168:169], v[4:5], s[14:15], v[0:1]
	v_fma_f64 v[170:171], v[231:232], s[12:13], v[2:3]
	v_fma_f64 v[243:244], v[247:248], 2.0, -v[168:169]
	v_fma_f64 v[245:246], v[249:250], 2.0, -v[170:171]
	ds_write_b128 v212, v[176:179]
	ds_write_b128 v212, v[184:187] offset:16
	ds_write_b128 v212, v[192:195] offset:32
	;; [unrolled: 1-line block ×15, first 2 shown]
	s_waitcnt lgkmcnt(0)
	s_barrier
	ds_read_b128 v[192:195], v237
	ds_read_b128 v[228:231], v237 offset:4096
	ds_read_b128 v[224:227], v237 offset:8192
	;; [unrolled: 1-line block ×14, first 2 shown]
	s_and_saveexec_b64 s[0:1], vcc
	s_cbranch_execz .LBB0_7
; %bb.6:
	ds_read_b128 v[168:171], v237 offset:3840
	ds_read_b128 v[92:95], v237 offset:7936
	;; [unrolled: 1-line block ×5, first 2 shown]
.LBB0_7:
	s_or_b64 exec, exec, s[0:1]
	s_waitcnt lgkmcnt(12)
	v_mul_f64 v[4:5], v[70:71], v[226:227]
	v_mul_f64 v[2:3], v[66:67], v[228:229]
	;; [unrolled: 1-line block ×4, first 2 shown]
	s_mov_b32 s2, 0x134454ff
	s_mov_b32 s3, 0xbfee6f0e
	s_mov_b32 s15, 0x3fee6f0e
	s_mov_b32 s14, s2
	v_fma_f64 v[4:5], v[82:83], v[224:225], v[4:5]
	s_waitcnt lgkmcnt(11)
	v_mul_f64 v[224:225], v[74:75], v[222:223]
	v_fma_f64 v[2:3], v[235:236], v[230:231], -v[2:3]
	v_fma_f64 v[6:7], v[82:83], v[226:227], -v[6:7]
	v_fma_f64 v[0:1], v[235:236], v[228:229], v[0:1]
	s_mov_b32 s6, 0x4755a5e
	s_mov_b32 s7, 0xbfe2cf23
	;; [unrolled: 1-line block ×4, first 2 shown]
	v_fma_f64 v[230:231], v[90:91], v[220:221], v[224:225]
	v_mul_f64 v[220:221], v[74:75], v[220:221]
	s_mov_b32 s0, 0x372fe950
	s_mov_b32 s1, 0x3fd3c6ef
	s_waitcnt lgkmcnt(0)
	s_barrier
	v_fma_f64 v[232:233], v[90:91], v[222:223], -v[220:221]
	v_mul_f64 v[220:221], v[78:79], v[218:219]
	v_fma_f64 v[238:239], v[86:87], v[216:217], v[220:221]
	v_mul_f64 v[216:217], v[78:79], v[216:217]
	v_fma_f64 v[240:241], v[86:87], v[218:219], -v[216:217]
	v_mul_f64 v[216:217], v[66:67], v[214:215]
	v_fma_f64 v[226:227], v[235:236], v[212:213], v[216:217]
	v_mul_f64 v[212:213], v[66:67], v[212:213]
	;; [unrolled: 4-line block ×5, first 2 shown]
	v_fma_f64 v[224:225], v[86:87], v[202:203], -v[200:201]
	v_mul_f64 v[200:201], v[66:67], v[198:199]
	v_mul_f64 v[66:67], v[66:67], v[196:197]
	v_add_f64 v[202:203], v[206:207], -v[210:211]
	v_fma_f64 v[216:217], v[235:236], v[196:197], v[200:201]
	v_mul_f64 v[196:197], v[70:71], v[190:191]
	v_mul_f64 v[70:71], v[70:71], v[188:189]
	v_fma_f64 v[66:67], v[235:236], v[198:199], -v[66:67]
	v_add_f64 v[198:199], v[240:241], -v[232:233]
	v_fma_f64 v[218:219], v[82:83], v[188:189], v[196:197]
	v_fma_f64 v[70:71], v[82:83], v[190:191], -v[70:71]
	v_mul_f64 v[82:83], v[74:75], v[186:187]
	v_mul_f64 v[74:75], v[74:75], v[184:185]
	v_add_f64 v[188:189], v[0:1], -v[4:5]
	v_add_f64 v[190:191], v[238:239], -v[230:231]
	;; [unrolled: 1-line block ×3, first 2 shown]
	v_fma_f64 v[82:83], v[90:91], v[184:185], v[82:83]
	v_fma_f64 v[74:75], v[90:91], v[186:187], -v[74:75]
	v_mul_f64 v[90:91], v[78:79], v[182:183]
	v_mul_f64 v[78:79], v[78:79], v[180:181]
	v_add_f64 v[186:187], v[6:7], -v[232:233]
	v_add_f64 v[190:191], v[188:189], v[190:191]
	v_fma_f64 v[90:91], v[86:87], v[180:181], v[90:91]
	v_fma_f64 v[78:79], v[86:87], v[182:183], -v[78:79]
	v_add_f64 v[86:87], v[192:193], v[0:1]
	v_add_f64 v[182:183], v[2:3], -v[240:241]
	v_add_f64 v[86:87], v[86:87], v[4:5]
	v_add_f64 v[86:87], v[86:87], v[230:231]
	v_add_f64 v[180:181], v[86:87], v[238:239]
	v_add_f64 v[86:87], v[4:5], v[230:231]
	v_fma_f64 v[86:87], v[86:87], -0.5, v[192:193]
	v_fma_f64 v[184:185], v[182:183], s[2:3], v[86:87]
	v_fma_f64 v[86:87], v[182:183], s[14:15], v[86:87]
	;; [unrolled: 1-line block ×6, first 2 shown]
	v_add_f64 v[86:87], v[0:1], v[238:239]
	v_fma_f64 v[86:87], v[86:87], -0.5, v[192:193]
	v_add_f64 v[192:193], v[4:5], -v[0:1]
	v_add_f64 v[0:1], v[0:1], -v[238:239]
	;; [unrolled: 1-line block ×3, first 2 shown]
	v_fma_f64 v[190:191], v[186:187], s[14:15], v[86:87]
	v_fma_f64 v[86:87], v[186:187], s[2:3], v[86:87]
	v_add_f64 v[192:193], v[192:193], v[196:197]
	v_fma_f64 v[190:191], v[182:183], s[6:7], v[190:191]
	v_fma_f64 v[86:87], v[182:183], s[12:13], v[86:87]
	;; [unrolled: 1-line block ×4, first 2 shown]
	v_add_f64 v[86:87], v[194:195], v[2:3]
	v_add_f64 v[190:191], v[2:3], -v[6:7]
	v_add_f64 v[86:87], v[86:87], v[6:7]
	v_add_f64 v[198:199], v[190:191], v[198:199]
	;; [unrolled: 1-line block ×5, first 2 shown]
	v_fma_f64 v[86:87], v[86:87], -0.5, v[194:195]
	v_fma_f64 v[186:187], v[0:1], s[14:15], v[86:87]
	v_fma_f64 v[86:87], v[0:1], s[2:3], v[86:87]
	;; [unrolled: 1-line block ×6, first 2 shown]
	v_add_f64 v[86:87], v[2:3], v[240:241]
	v_add_f64 v[2:3], v[6:7], -v[2:3]
	v_add_f64 v[6:7], v[232:233], -v[240:241]
	v_fma_f64 v[86:87], v[86:87], -0.5, v[194:195]
	v_add_f64 v[2:3], v[2:3], v[6:7]
	v_add_f64 v[6:7], v[220:221], -v[222:223]
	v_fma_f64 v[194:195], v[4:5], s[2:3], v[86:87]
	v_fma_f64 v[4:5], v[4:5], s[14:15], v[86:87]
	v_add_f64 v[86:87], v[226:227], -v[228:229]
	v_fma_f64 v[194:195], v[0:1], s[12:13], v[194:195]
	v_fma_f64 v[0:1], v[0:1], s[6:7], v[4:5]
	v_add_f64 v[86:87], v[86:87], v[202:203]
	v_fma_f64 v[198:199], v[2:3], s[0:1], v[194:195]
	v_fma_f64 v[194:195], v[2:3], s[0:1], v[0:1]
	v_add_f64 v[0:1], v[176:177], v[226:227]
	v_add_f64 v[2:3], v[214:215], -v[224:225]
	v_add_f64 v[0:1], v[0:1], v[228:229]
	v_add_f64 v[0:1], v[0:1], v[210:211]
	;; [unrolled: 1-line block ×4, first 2 shown]
	v_fma_f64 v[0:1], v[0:1], -0.5, v[176:177]
	v_fma_f64 v[4:5], v[2:3], s[2:3], v[0:1]
	v_fma_f64 v[0:1], v[2:3], s[14:15], v[0:1]
	;; [unrolled: 1-line block ×6, first 2 shown]
	v_add_f64 v[0:1], v[226:227], v[206:207]
	v_add_f64 v[86:87], v[228:229], -v[226:227]
	v_fma_f64 v[0:1], v[0:1], -0.5, v[176:177]
	v_add_f64 v[176:177], v[210:211], -v[206:207]
	v_fma_f64 v[4:5], v[6:7], s[14:15], v[0:1]
	v_fma_f64 v[0:1], v[6:7], s[2:3], v[0:1]
	v_add_f64 v[86:87], v[86:87], v[176:177]
	v_add_f64 v[6:7], v[228:229], -v[210:211]
	v_fma_f64 v[4:5], v[2:3], s[6:7], v[4:5]
	v_fma_f64 v[0:1], v[2:3], s[12:13], v[0:1]
	v_add_f64 v[2:3], v[226:227], -v[206:207]
	v_add_f64 v[206:207], v[224:225], -v[222:223]
	v_fma_f64 v[212:213], v[86:87], s[0:1], v[4:5]
	v_fma_f64 v[176:177], v[86:87], s[0:1], v[0:1]
	v_add_f64 v[0:1], v[178:179], v[214:215]
	v_add_f64 v[86:87], v[214:215], -v[220:221]
	v_add_f64 v[0:1], v[0:1], v[220:221]
	v_add_f64 v[86:87], v[86:87], v[206:207]
	;; [unrolled: 1-line block ×5, first 2 shown]
	v_fma_f64 v[0:1], v[0:1], -0.5, v[178:179]
	v_fma_f64 v[4:5], v[2:3], s[14:15], v[0:1]
	v_fma_f64 v[0:1], v[2:3], s[2:3], v[0:1]
	v_fma_f64 v[4:5], v[6:7], s[12:13], v[4:5]
	v_fma_f64 v[0:1], v[6:7], s[6:7], v[0:1]
	v_fma_f64 v[210:211], v[86:87], s[0:1], v[4:5]
	v_fma_f64 v[206:207], v[86:87], s[0:1], v[0:1]
	v_add_f64 v[0:1], v[214:215], v[224:225]
	v_add_f64 v[86:87], v[220:221], -v[214:215]
	v_fma_f64 v[0:1], v[0:1], -0.5, v[178:179]
	v_add_f64 v[178:179], v[222:223], -v[224:225]
	v_add_f64 v[222:223], v[90:91], -v[82:83]
	v_fma_f64 v[4:5], v[6:7], s[2:3], v[0:1]
	v_fma_f64 v[0:1], v[6:7], s[14:15], v[0:1]
	v_add_f64 v[86:87], v[86:87], v[178:179]
	v_add_f64 v[6:7], v[70:71], -v[74:75]
	v_fma_f64 v[4:5], v[2:3], s[12:13], v[4:5]
	v_fma_f64 v[0:1], v[2:3], s[6:7], v[0:1]
	v_add_f64 v[2:3], v[66:67], -v[78:79]
	v_fma_f64 v[214:215], v[86:87], s[0:1], v[4:5]
	v_fma_f64 v[178:179], v[86:87], s[0:1], v[0:1]
	v_add_f64 v[0:1], v[172:173], v[216:217]
	v_add_f64 v[86:87], v[216:217], -v[218:219]
	v_add_f64 v[0:1], v[0:1], v[218:219]
	v_add_f64 v[86:87], v[86:87], v[222:223]
	;; [unrolled: 1-line block ×5, first 2 shown]
	v_fma_f64 v[0:1], v[0:1], -0.5, v[172:173]
	v_fma_f64 v[4:5], v[2:3], s[2:3], v[0:1]
	v_fma_f64 v[0:1], v[2:3], s[14:15], v[0:1]
	;; [unrolled: 1-line block ×6, first 2 shown]
	v_add_f64 v[0:1], v[216:217], v[90:91]
	v_add_f64 v[86:87], v[218:219], -v[216:217]
	v_fma_f64 v[0:1], v[0:1], -0.5, v[172:173]
	v_add_f64 v[172:173], v[82:83], -v[90:91]
	v_fma_f64 v[4:5], v[6:7], s[14:15], v[0:1]
	v_fma_f64 v[0:1], v[6:7], s[2:3], v[0:1]
	v_add_f64 v[86:87], v[86:87], v[172:173]
	v_add_f64 v[6:7], v[218:219], -v[82:83]
	v_add_f64 v[82:83], v[66:67], -v[70:71]
	v_fma_f64 v[4:5], v[2:3], s[6:7], v[4:5]
	v_fma_f64 v[0:1], v[2:3], s[12:13], v[0:1]
	v_add_f64 v[2:3], v[216:217], -v[90:91]
	v_fma_f64 v[172:173], v[86:87], s[0:1], v[4:5]
	v_fma_f64 v[243:244], v[86:87], s[0:1], v[0:1]
	v_add_f64 v[0:1], v[174:175], v[66:67]
	v_add_f64 v[86:87], v[78:79], -v[74:75]
	v_add_f64 v[0:1], v[0:1], v[70:71]
	v_add_f64 v[82:83], v[82:83], v[86:87]
	;; [unrolled: 1-line block ×5, first 2 shown]
	v_fma_f64 v[0:1], v[0:1], -0.5, v[174:175]
	v_fma_f64 v[4:5], v[2:3], s[14:15], v[0:1]
	v_fma_f64 v[0:1], v[2:3], s[2:3], v[0:1]
	;; [unrolled: 1-line block ×6, first 2 shown]
	v_add_f64 v[0:1], v[66:67], v[78:79]
	v_add_f64 v[66:67], v[70:71], -v[66:67]
	v_add_f64 v[70:71], v[74:75], -v[78:79]
	v_fma_f64 v[0:1], v[0:1], -0.5, v[174:175]
	v_add_f64 v[66:67], v[66:67], v[70:71]
	v_fma_f64 v[4:5], v[6:7], s[2:3], v[0:1]
	v_fma_f64 v[0:1], v[6:7], s[14:15], v[0:1]
	;; [unrolled: 1-line block ×6, first 2 shown]
	buffer_load_dword v0, off, s[24:27], 0 offset:48 ; 4-byte Folded Reload
	s_waitcnt vmcnt(0)
	ds_write_b128 v0, v[180:183]
	ds_write_b128 v0, v[188:191] offset:256
	ds_write_b128 v0, v[196:199] offset:512
	ds_write_b128 v0, v[192:195] offset:768
	ds_write_b128 v0, v[184:187] offset:1024
	ds_write_b128 v255, v[200:203]
	ds_write_b128 v255, v[208:211] offset:256
	ds_write_b128 v255, v[212:215] offset:512
	ds_write_b128 v255, v[176:179] offset:768
	ds_write_b128 v255, v[204:207] offset:1024
	;; [unrolled: 5-line block ×3, first 2 shown]
	s_and_saveexec_b64 s[16:17], vcc
	s_cbranch_execz .LBB0_9
; %bb.8:
	buffer_load_dword v78, off, s[24:27], 0 offset:52 ; 4-byte Folded Reload
	buffer_load_dword v79, off, s[24:27], 0 offset:56 ; 4-byte Folded Reload
	v_mul_f64 v[2:3], v[80:81], v[92:93]
	v_mul_f64 v[0:1], v[88:89], v[96:97]
	;; [unrolled: 1-line block ×6, first 2 shown]
	v_fma_f64 v[2:3], v[64:65], v[94:95], -v[2:3]
	v_fma_f64 v[0:1], v[68:69], v[98:99], -v[0:1]
	;; [unrolled: 1-line block ×3, first 2 shown]
	v_fma_f64 v[68:69], v[68:69], v[96:97], v[66:67]
	v_fma_f64 v[72:73], v[72:73], v[100:101], v[70:71]
	;; [unrolled: 1-line block ×3, first 2 shown]
	v_add_f64 v[88:89], v[170:171], v[2:3]
	v_add_f64 v[70:71], v[0:1], -v[2:3]
	v_add_f64 v[82:83], v[0:1], v[6:7]
	v_add_f64 v[84:85], v[2:3], -v[0:1]
	v_add_f64 v[100:101], v[68:69], v[72:73]
	v_add_f64 v[102:103], v[168:169], v[64:65]
	v_add_f64 v[98:99], v[0:1], -v[6:7]
	v_add_f64 v[90:91], v[68:69], -v[64:65]
	v_add_f64 v[0:1], v[88:89], v[0:1]
	v_fma_f64 v[82:83], v[82:83], -0.5, v[170:171]
	v_fma_f64 v[88:89], v[100:101], -0.5, v[168:169]
	v_add_f64 v[0:1], v[0:1], v[6:7]
	s_waitcnt vmcnt(0)
	v_mul_f64 v[4:5], v[78:79], v[104:105]
	v_mul_f64 v[78:79], v[78:79], v[106:107]
	v_fma_f64 v[4:5], v[76:77], v[106:107], -v[4:5]
	v_fma_f64 v[76:77], v[76:77], v[104:105], v[78:79]
	v_add_f64 v[78:79], v[68:69], -v[72:73]
	v_add_f64 v[66:67], v[2:3], v[4:5]
	v_add_f64 v[74:75], v[6:7], -v[4:5]
	v_add_f64 v[80:81], v[64:65], -v[76:77]
	;; [unrolled: 1-line block ×3, first 2 shown]
	v_add_f64 v[94:95], v[64:65], v[76:77]
	v_add_f64 v[2:3], v[2:3], -v[4:5]
	v_add_f64 v[92:93], v[72:73], -v[76:77]
	v_add_f64 v[64:65], v[64:65], -v[68:69]
	v_fma_f64 v[66:67], v[66:67], -0.5, v[170:171]
	v_add_f64 v[70:71], v[70:71], v[74:75]
	v_fma_f64 v[74:75], v[80:81], s[2:3], v[82:83]
	v_fma_f64 v[82:83], v[80:81], s[14:15], v[82:83]
	v_add_f64 v[84:85], v[84:85], v[86:87]
	v_fma_f64 v[86:87], v[94:95], -0.5, v[168:169]
	v_add_f64 v[68:69], v[102:103], v[68:69]
	v_add_f64 v[6:7], v[90:91], v[92:93]
	v_fma_f64 v[96:97], v[78:79], s[14:15], v[66:67]
	v_fma_f64 v[66:67], v[78:79], s[2:3], v[66:67]
	;; [unrolled: 1-line block ×14, first 2 shown]
	v_add_f64 v[80:81], v[76:77], -v[72:73]
	v_add_f64 v[90:91], v[64:65], v[80:81]
	v_add_f64 v[64:65], v[68:69], v[72:73]
	v_fma_f64 v[68:69], v[98:99], s[6:7], v[82:83]
	v_fma_f64 v[72:73], v[2:3], s[6:7], v[94:95]
	;; [unrolled: 1-line block ×4, first 2 shown]
	v_add_f64 v[82:83], v[0:1], v[4:5]
	v_add_f64 v[80:81], v[64:65], v[76:77]
	v_fma_f64 v[76:77], v[90:91], s[0:1], v[68:69]
	v_fma_f64 v[68:69], v[6:7], s[0:1], v[72:73]
	;; [unrolled: 1-line block ×4, first 2 shown]
	ds_write_b128 v237, v[80:83] offset:19200
	ds_write_b128 v237, v[76:79] offset:19456
	;; [unrolled: 1-line block ×5, first 2 shown]
.LBB0_9:
	s_or_b64 exec, exec, s[16:17]
	s_waitcnt lgkmcnt(0)
	s_barrier
	ds_read_b128 v[64:67], v237
	ds_read_b128 v[68:71], v237 offset:1280
	ds_read_b128 v[72:75], v237 offset:2560
	;; [unrolled: 1-line block ×13, first 2 shown]
	s_waitcnt lgkmcnt(12)
	v_mul_f64 v[0:1], v[134:135], v[70:71]
	v_mul_f64 v[2:3], v[134:135], v[68:69]
	s_waitcnt lgkmcnt(11)
	v_mul_f64 v[4:5], v[118:119], v[74:75]
	v_mul_f64 v[6:7], v[118:119], v[72:73]
	;; [unrolled: 3-line block ×3, first 2 shown]
	ds_read_b128 v[180:183], v237 offset:17920
	ds_read_b128 v[184:187], v237 offset:19200
	s_mov_b32 s0, 0x667f3bcd
	v_fma_f64 v[0:1], v[132:133], v[68:69], v[0:1]
	v_fma_f64 v[2:3], v[132:133], v[70:71], -v[2:3]
	v_fma_f64 v[4:5], v[116:117], v[72:73], v[4:5]
	v_fma_f64 v[6:7], v[116:117], v[74:75], -v[6:7]
	;; [unrolled: 2-line block ×3, first 2 shown]
	s_waitcnt lgkmcnt(11)
	v_mul_f64 v[72:73], v[110:111], v[82:83]
	v_mul_f64 v[74:75], v[110:111], v[80:81]
	s_waitcnt lgkmcnt(10)
	v_mul_f64 v[76:77], v[150:151], v[86:87]
	v_mul_f64 v[78:79], v[150:151], v[84:85]
	;; [unrolled: 3-line block ×4, first 2 shown]
	v_fma_f64 v[72:73], v[108:109], v[80:81], v[72:73]
	v_fma_f64 v[74:75], v[108:109], v[82:83], -v[74:75]
	v_fma_f64 v[76:77], v[148:149], v[84:85], v[76:77]
	v_fma_f64 v[78:79], v[148:149], v[86:87], -v[78:79]
	v_fma_f64 v[80:81], v[128:129], v[88:89], v[110:111]
	v_fma_f64 v[82:83], v[128:129], v[90:91], -v[112:113]
	v_fma_f64 v[84:85], v[124:125], v[92:93], v[114:115]
	v_fma_f64 v[86:87], v[124:125], v[94:95], -v[116:117]
	s_waitcnt lgkmcnt(7)
	v_mul_f64 v[88:89], v[122:123], v[98:99]
	v_mul_f64 v[90:91], v[122:123], v[96:97]
	s_waitcnt lgkmcnt(6)
	v_mul_f64 v[92:93], v[162:163], v[102:103]
	v_mul_f64 v[94:95], v[162:163], v[100:101]
	;; [unrolled: 3-line block ×4, first 2 shown]
	v_fma_f64 v[88:89], v[120:121], v[96:97], v[88:89]
	v_fma_f64 v[90:91], v[120:121], v[98:99], -v[90:91]
	v_fma_f64 v[92:93], v[160:161], v[100:101], v[92:93]
	v_fma_f64 v[94:95], v[160:161], v[102:103], -v[94:95]
	;; [unrolled: 2-line block ×4, first 2 shown]
	s_waitcnt lgkmcnt(3)
	v_mul_f64 v[104:105], v[138:139], v[174:175]
	v_mul_f64 v[106:107], v[138:139], v[172:173]
	s_waitcnt lgkmcnt(1)
	v_mul_f64 v[112:113], v[158:159], v[182:183]
	v_mul_f64 v[114:115], v[158:159], v[180:181]
	;; [unrolled: 1-line block ×4, first 2 shown]
	s_waitcnt lgkmcnt(0)
	v_mul_f64 v[116:117], v[154:155], v[186:187]
	v_mul_f64 v[118:119], v[154:155], v[184:185]
	v_fma_f64 v[104:105], v[136:137], v[172:173], v[104:105]
	v_fma_f64 v[106:107], v[136:137], v[174:175], -v[106:107]
	v_fma_f64 v[112:113], v[156:157], v[180:181], v[112:113]
	v_fma_f64 v[114:115], v[156:157], v[182:183], -v[114:115]
	v_add_f64 v[88:89], v[64:65], -v[88:89]
	v_add_f64 v[90:91], v[66:67], -v[90:91]
	;; [unrolled: 1-line block ×8, first 2 shown]
	v_fma_f64 v[108:109], v[164:165], v[176:177], v[108:109]
	v_fma_f64 v[110:111], v[164:165], v[178:179], -v[110:111]
	v_fma_f64 v[116:117], v[152:153], v[184:185], v[116:117]
	v_fma_f64 v[118:119], v[152:153], v[186:187], -v[118:119]
	v_fma_f64 v[64:65], v[64:65], 2.0, -v[88:89]
	v_fma_f64 v[66:67], v[66:67], 2.0, -v[90:91]
	;; [unrolled: 1-line block ×8, first 2 shown]
	v_add_f64 v[106:107], v[88:89], v[106:107]
	v_add_f64 v[104:105], v[90:91], -v[104:105]
	v_add_f64 v[114:115], v[96:97], v[114:115]
	v_add_f64 v[112:113], v[98:99], -v[112:113]
	v_add_f64 v[92:93], v[0:1], -v[92:93]
	;; [unrolled: 1-line block ×13, first 2 shown]
	v_fma_f64 v[88:89], v[88:89], 2.0, -v[106:107]
	v_fma_f64 v[90:91], v[90:91], 2.0, -v[104:105]
	;; [unrolled: 1-line block ×16, first 2 shown]
	v_add_f64 v[110:111], v[92:93], v[110:111]
	v_add_f64 v[108:109], v[94:95], -v[108:109]
	v_add_f64 v[118:119], v[100:101], v[118:119]
	v_add_f64 v[116:117], v[102:103], -v[116:117]
	s_mov_b32 s1, 0xbfe6a09e
	v_fma_f64 v[120:121], v[96:97], s[0:1], v[88:89]
	v_fma_f64 v[122:123], v[98:99], s[0:1], v[90:91]
	v_add_f64 v[128:129], v[72:73], v[82:83]
	v_add_f64 v[130:131], v[74:75], -v[80:81]
	v_add_f64 v[76:77], v[0:1], -v[76:77]
	;; [unrolled: 1-line block ×5, first 2 shown]
	v_fma_f64 v[92:93], v[92:93], 2.0, -v[110:111]
	v_fma_f64 v[94:95], v[94:95], 2.0, -v[108:109]
	;; [unrolled: 1-line block ×4, first 2 shown]
	v_add_f64 v[4:5], v[64:65], -v[4:5]
	v_add_f64 v[6:7], v[66:67], -v[6:7]
	s_mov_b32 s3, 0x3fe6a09e
	s_mov_b32 s2, s0
	v_fma_f64 v[124:125], v[114:115], s[2:3], v[106:107]
	v_fma_f64 v[126:127], v[112:113], s[2:3], v[104:105]
	;; [unrolled: 1-line block ×4, first 2 shown]
	v_fma_f64 v[96:97], v[72:73], 2.0, -v[128:129]
	v_fma_f64 v[98:99], v[74:75], 2.0, -v[130:131]
	v_fma_f64 v[72:73], v[118:119], s[2:3], v[110:111]
	v_fma_f64 v[74:75], v[116:117], s[2:3], v[108:109]
	v_fma_f64 v[0:1], v[0:1], 2.0, -v[76:77]
	v_fma_f64 v[2:3], v[2:3], 2.0, -v[78:79]
	;; [unrolled: 1-line block ×6, first 2 shown]
	v_fma_f64 v[64:65], v[100:101], s[0:1], v[92:93]
	v_fma_f64 v[66:67], v[102:103], s[0:1], v[94:95]
	;; [unrolled: 1-line block ×4, first 2 shown]
	v_add_f64 v[132:133], v[76:77], v[86:87]
	v_add_f64 v[134:135], v[78:79], -v[84:85]
	v_fma_f64 v[116:117], v[116:117], s[2:3], v[72:73]
	v_fma_f64 v[118:119], v[118:119], s[0:1], v[74:75]
	v_add_f64 v[112:113], v[0:1], -v[68:69]
	v_add_f64 v[114:115], v[2:3], -v[70:71]
	v_fma_f64 v[102:103], v[102:103], s[2:3], v[64:65]
	v_fma_f64 v[100:101], v[100:101], s[0:1], v[66:67]
	v_fma_f64 v[106:107], v[106:107], 2.0, -v[124:125]
	v_fma_f64 v[104:105], v[104:105], 2.0, -v[126:127]
	v_fma_f64 v[74:75], v[76:77], 2.0, -v[132:133]
	v_fma_f64 v[72:73], v[78:79], 2.0, -v[134:135]
	v_fma_f64 v[78:79], v[110:111], 2.0, -v[116:117]
	v_fma_f64 v[76:77], v[108:109], 2.0, -v[118:119]
	v_fma_f64 v[88:89], v[88:89], 2.0, -v[120:121]
	v_fma_f64 v[90:91], v[90:91], 2.0, -v[122:123]
	v_fma_f64 v[0:1], v[0:1], 2.0, -v[112:113]
	v_fma_f64 v[2:3], v[2:3], 2.0, -v[114:115]
	v_fma_f64 v[70:71], v[92:93], 2.0, -v[102:103]
	v_fma_f64 v[68:69], v[94:95], 2.0, -v[100:101]
	s_mov_b32 s12, 0xa6aea964
	s_mov_b32 s13, 0x3fd87de2
	;; [unrolled: 1-line block ×4, first 2 shown]
	v_fma_f64 v[92:93], v[78:79], s[14:15], v[106:107]
	v_fma_f64 v[94:95], v[76:77], s[14:15], v[104:105]
	s_mov_b32 s6, 0xcf328d46
	s_mov_b32 s7, 0xbfed906b
	v_add_f64 v[64:65], v[80:81], -v[0:1]
	v_add_f64 v[66:67], v[82:83], -v[2:3]
	v_fma_f64 v[0:1], v[70:71], s[6:7], v[88:89]
	v_fma_f64 v[2:3], v[68:69], s[6:7], v[90:91]
	;; [unrolled: 1-line block ×4, first 2 shown]
	s_mov_b32 s17, 0x3fed906b
	s_mov_b32 s16, s6
	v_fma_f64 v[76:77], v[76:77], s[16:17], v[92:93]
	v_fma_f64 v[78:79], v[78:79], s[6:7], v[94:95]
	;; [unrolled: 1-line block ×8, first 2 shown]
	v_fma_f64 v[92:93], v[106:107], 2.0, -v[76:77]
	v_fma_f64 v[94:95], v[104:105], 2.0, -v[78:79]
	v_fma_f64 v[104:105], v[132:133], s[2:3], v[128:129]
	v_fma_f64 v[106:107], v[134:135], s[2:3], v[130:131]
	;; [unrolled: 1-line block ×4, first 2 shown]
	v_fma_f64 v[84:85], v[88:89], 2.0, -v[68:69]
	v_fma_f64 v[86:87], v[90:91], 2.0, -v[70:71]
	;; [unrolled: 1-line block ×4, first 2 shown]
	v_add_f64 v[96:97], v[4:5], v[114:115]
	v_add_f64 v[98:99], v[6:7], -v[112:113]
	v_fma_f64 v[100:101], v[100:101], s[16:17], v[0:1]
	v_fma_f64 v[102:103], v[102:103], s[6:7], v[2:3]
	;; [unrolled: 1-line block ×6, first 2 shown]
	v_fma_f64 v[80:81], v[80:81], 2.0, -v[64:65]
	v_fma_f64 v[82:83], v[82:83], 2.0, -v[66:67]
	;; [unrolled: 1-line block ×10, first 2 shown]
	ds_write_b128 v237, v[80:83]
	ds_write_b128 v237, v[84:87] offset:1280
	ds_write_b128 v237, v[88:91] offset:2560
	;; [unrolled: 1-line block ×15, first 2 shown]
	s_waitcnt lgkmcnt(0)
	s_barrier
	ds_read_b128 v[64:67], v237
	buffer_load_dword v0, off, s[24:27], 0  ; 4-byte Folded Reload
	buffer_load_dword v1, off, s[24:27], 0 offset:4 ; 4-byte Folded Reload
	ds_read_b128 v[68:71], v237 offset:1280
	s_mul_i32 s2, s9, 0x500
	s_mul_hi_u32 s3, s8, 0x500
	s_waitcnt lgkmcnt(1)
	v_mul_f64 v[2:3], v[26:27], v[66:67]
	v_mul_f64 v[4:5], v[26:27], v[64:65]
	s_add_i32 s2, s3, s2
	s_mul_i32 s3, s8, 0x500
	v_fma_f64 v[4:5], v[24:25], v[66:67], -v[4:5]
	s_waitcnt vmcnt(1)
	v_mov_b32_e32 v6, v0
	s_waitcnt vmcnt(0)
	v_mad_u64_u32 v[0:1], s[0:1], s10, v6, 0
	v_mad_u64_u32 v[6:7], s[0:1], s11, v6, v[1:2]
	buffer_load_dword v7, off, s[24:27], 0 offset:8 ; 4-byte Folded Reload
	v_fma_f64 v[2:3], v[24:25], v[64:65], v[2:3]
	ds_read_b128 v[64:67], v237 offset:3840
	v_mov_b32_e32 v1, v6
	v_lshlrev_b64 v[0:1], 4, v[0:1]
	v_add_co_u32_e32 v74, vcc, s4, v0
	s_waitcnt vmcnt(0)
	v_mad_u64_u32 v[72:73], s[0:1], s8, v7, 0
	v_mov_b32_e32 v6, v73
	v_mad_u64_u32 v[6:7], s[0:1], s9, v7, v[6:7]
	s_mov_b32 s0, 0x9999999a
	s_mov_b32 s1, 0x3f499999
	v_mul_f64 v[24:25], v[2:3], s[0:1]
	v_mul_f64 v[26:27], v[4:5], s[0:1]
	s_waitcnt lgkmcnt(1)
	v_mul_f64 v[2:3], v[14:15], v[70:71]
	v_mul_f64 v[4:5], v[14:15], v[68:69]
	v_mov_b32_e32 v73, v6
	v_mov_b32_e32 v6, s5
	v_addc_co_u32_e32 v75, vcc, v6, v1, vcc
	v_lshlrev_b64 v[0:1], 4, v[72:73]
	v_add_co_u32_e32 v0, vcc, v74, v0
	v_addc_co_u32_e32 v1, vcc, v75, v1, vcc
	global_store_dwordx4 v[0:1], v[24:27], off
	v_fma_f64 v[2:3], v[12:13], v[68:69], v[2:3]
	v_fma_f64 v[4:5], v[12:13], v[70:71], -v[4:5]
	ds_read_b128 v[12:15], v237 offset:2560
	buffer_load_dword v76, off, s[24:27], 0 offset:28 ; 4-byte Folded Reload
	buffer_load_dword v77, off, s[24:27], 0 offset:32 ; 4-byte Folded Reload
	;; [unrolled: 1-line block ×4, first 2 shown]
	v_add_co_u32_e32 v0, vcc, s3, v0
	v_mov_b32_e32 v70, s2
	s_waitcnt lgkmcnt(0)
	v_mul_f64 v[6:7], v[18:19], v[12:13]
	v_mul_f64 v[24:25], v[2:3], s[0:1]
	;; [unrolled: 1-line block ×4, first 2 shown]
	v_mov_b32_e32 v18, s2
	v_addc_co_u32_e32 v1, vcc, v1, v18, vcc
	v_fma_f64 v[4:5], v[16:17], v[14:15], -v[6:7]
	v_fma_f64 v[2:3], v[16:17], v[12:13], v[2:3]
	ds_read_b128 v[16:19], v237 offset:5120
	global_store_dwordx4 v[0:1], v[24:27], off
	v_add_co_u32_e32 v0, vcc, s3, v0
	v_addc_co_u32_e32 v1, vcc, v1, v70, vcc
	v_mul_f64 v[14:15], v[4:5], s[0:1]
	v_mul_f64 v[12:13], v[2:3], s[0:1]
	global_store_dwordx4 v[0:1], v[12:15], off
	v_add_co_u32_e32 v0, vcc, s3, v0
	s_waitcnt vmcnt(2)
	v_mul_f64 v[6:7], v[78:79], v[66:67]
	v_mul_f64 v[68:69], v[78:79], v[64:65]
	v_fma_f64 v[2:3], v[76:77], v[64:65], v[6:7]
	ds_read_b128 v[4:7], v237 offset:6400
	v_fma_f64 v[24:25], v[76:77], v[66:67], -v[68:69]
	s_waitcnt lgkmcnt(1)
	v_mul_f64 v[26:27], v[22:23], v[18:19]
	v_mul_f64 v[22:23], v[22:23], v[16:17]
	;; [unrolled: 1-line block ×4, first 2 shown]
	v_fma_f64 v[2:3], v[20:21], v[16:17], v[26:27]
	v_fma_f64 v[16:17], v[20:21], v[18:19], -v[22:23]
	s_waitcnt lgkmcnt(0)
	v_mul_f64 v[18:19], v[10:11], v[6:7]
	v_mul_f64 v[20:21], v[10:11], v[4:5]
	v_mov_b32_e32 v24, s2
	v_addc_co_u32_e32 v1, vcc, v1, v24, vcc
	global_store_dwordx4 v[0:1], v[12:15], off
	v_mul_f64 v[10:11], v[2:3], s[0:1]
	v_mul_f64 v[12:13], v[16:17], s[0:1]
	ds_read_b128 v[14:17], v237 offset:7680
	v_fma_f64 v[2:3], v[8:9], v[4:5], v[18:19]
	v_fma_f64 v[18:19], v[8:9], v[6:7], -v[20:21]
	ds_read_b128 v[4:7], v237 offset:8960
	buffer_load_dword v64, off, s[24:27], 0 offset:12 ; 4-byte Folded Reload
	buffer_load_dword v65, off, s[24:27], 0 offset:16 ; 4-byte Folded Reload
	;; [unrolled: 1-line block ×4, first 2 shown]
	v_add_co_u32_e32 v0, vcc, s3, v0
	v_addc_co_u32_e32 v1, vcc, v1, v24, vcc
	v_mul_f64 v[8:9], v[2:3], s[0:1]
	global_store_dwordx4 v[0:1], v[10:13], off
	s_waitcnt vmcnt(1) lgkmcnt(1)
	v_mul_f64 v[20:21], v[66:67], v[16:17]
	v_mul_f64 v[22:23], v[66:67], v[14:15]
	;; [unrolled: 1-line block ×3, first 2 shown]
	v_mov_b32_e32 v19, s2
	v_add_co_u32_e32 v18, vcc, s3, v0
	v_addc_co_u32_e32 v19, vcc, v1, v19, vcc
	v_fma_f64 v[2:3], v[64:65], v[14:15], v[20:21]
	buffer_load_dword v21, off, s[24:27], 0 offset:44 ; 4-byte Folded Reload
	v_fma_f64 v[12:13], v[64:65], v[16:17], -v[22:23]
	s_waitcnt lgkmcnt(0)
	v_mul_f64 v[14:15], v[62:63], v[6:7]
	v_mul_f64 v[16:17], v[62:63], v[4:5]
	global_store_dwordx4 v[18:19], v[8:11], off
	v_mov_b32_e32 v20, s2
	v_mov_b32_e32 v8, s2
	v_mul_f64 v[0:1], v[2:3], s[0:1]
	v_mul_f64 v[2:3], v[12:13], s[0:1]
	v_add_co_u32_e32 v12, vcc, s3, v18
	v_addc_co_u32_e32 v13, vcc, v19, v8, vcc
	v_fma_f64 v[4:5], v[60:61], v[4:5], v[14:15]
	v_fma_f64 v[6:7], v[60:61], v[6:7], -v[16:17]
	ds_read_b128 v[8:11], v237 offset:11520
	global_store_dwordx4 v[12:13], v[0:3], off
	ds_read_b128 v[0:3], v237 offset:10240
	v_add_co_u32_e32 v12, vcc, s3, v12
	v_addc_co_u32_e32 v13, vcc, v13, v20, vcc
	s_waitcnt lgkmcnt(0)
	v_mul_f64 v[14:15], v[50:51], v[2:3]
	v_mul_f64 v[16:17], v[50:51], v[0:1]
	v_mul_f64 v[4:5], v[4:5], s[0:1]
	v_mul_f64 v[6:7], v[6:7], s[0:1]
	v_fma_f64 v[0:1], v[48:49], v[0:1], v[14:15]
	v_fma_f64 v[2:3], v[48:49], v[2:3], -v[16:17]
	global_store_dwordx4 v[12:13], v[4:7], off
	ds_read_b128 v[4:7], v237 offset:12800
	v_mul_f64 v[0:1], v[0:1], s[0:1]
	v_mul_f64 v[2:3], v[2:3], s[0:1]
	s_waitcnt vmcnt(3)
	v_mad_u64_u32 v[18:19], s[4:5], s8, v21, 0
	v_mov_b32_e32 v14, v19
	v_mad_u64_u32 v[14:15], s[4:5], s9, v21, v[14:15]
	v_mul_f64 v[15:16], v[30:31], v[10:11]
	v_mul_f64 v[20:21], v[30:31], v[8:9]
	v_mov_b32_e32 v19, v14
	v_lshlrev_b64 v[17:18], 4, v[18:19]
	v_fma_f64 v[14:15], v[28:29], v[8:9], v[15:16]
	v_fma_f64 v[19:20], v[28:29], v[10:11], -v[20:21]
	ds_read_b128 v[8:11], v237 offset:14080
	s_waitcnt lgkmcnt(1)
	v_mul_f64 v[21:22], v[54:55], v[6:7]
	v_mul_f64 v[23:24], v[54:55], v[4:5]
	v_add_co_u32_e32 v16, vcc, v74, v17
	v_addc_co_u32_e32 v17, vcc, v75, v18, vcc
	global_store_dwordx4 v[16:17], v[0:3], off
	s_waitcnt lgkmcnt(0)
	v_mul_f64 v[16:17], v[38:39], v[8:9]
	v_mul_f64 v[0:1], v[14:15], s[0:1]
	;; [unrolled: 1-line block ×3, first 2 shown]
	v_fma_f64 v[4:5], v[52:53], v[4:5], v[21:22]
	v_fma_f64 v[6:7], v[52:53], v[6:7], -v[23:24]
	v_mov_b32_e32 v14, 0xa00
	v_mad_u64_u32 v[12:13], s[4:5], s8, v14, v[12:13]
	v_mul_f64 v[14:15], v[38:39], v[10:11]
	s_mul_i32 s4, s9, 0xa00
	v_add_u32_e32 v13, s4, v13
	global_store_dwordx4 v[12:13], v[0:3], off
	v_fma_f64 v[16:17], v[36:37], v[10:11], -v[16:17]
	v_mul_f64 v[0:1], v[4:5], s[0:1]
	v_mul_f64 v[2:3], v[6:7], s[0:1]
	ds_read_b128 v[4:7], v237 offset:15360
	v_fma_f64 v[14:15], v[36:37], v[8:9], v[14:15]
	ds_read_b128 v[8:11], v237 offset:16640
	v_mov_b32_e32 v22, s2
	v_add_co_u32_e32 v12, vcc, s3, v12
	s_waitcnt lgkmcnt(1)
	v_mul_f64 v[18:19], v[34:35], v[6:7]
	v_mul_f64 v[20:21], v[34:35], v[4:5]
	v_addc_co_u32_e32 v13, vcc, v13, v22, vcc
	global_store_dwordx4 v[12:13], v[0:3], off
	v_add_co_u32_e32 v12, vcc, s3, v12
	v_mul_f64 v[0:1], v[14:15], s[0:1]
	v_mul_f64 v[2:3], v[16:17], s[0:1]
	v_fma_f64 v[4:5], v[32:33], v[4:5], v[18:19]
	v_fma_f64 v[6:7], v[32:33], v[6:7], -v[20:21]
	s_waitcnt lgkmcnt(0)
	v_mul_f64 v[14:15], v[58:59], v[10:11]
	v_mul_f64 v[16:17], v[58:59], v[8:9]
	v_addc_co_u32_e32 v13, vcc, v13, v22, vcc
	v_mov_b32_e32 v18, s2
	global_store_dwordx4 v[12:13], v[0:3], off
	v_add_co_u32_e32 v12, vcc, s3, v12
	v_mul_f64 v[0:1], v[4:5], s[0:1]
	v_mul_f64 v[2:3], v[6:7], s[0:1]
	v_fma_f64 v[14:15], v[56:57], v[8:9], v[14:15]
	v_fma_f64 v[16:17], v[56:57], v[10:11], -v[16:17]
	ds_read_b128 v[4:7], v237 offset:17920
	ds_read_b128 v[8:11], v237 offset:19200
	v_addc_co_u32_e32 v13, vcc, v13, v18, vcc
	s_waitcnt lgkmcnt(1)
	v_mul_f64 v[18:19], v[42:43], v[6:7]
	v_mul_f64 v[20:21], v[42:43], v[4:5]
	s_waitcnt lgkmcnt(0)
	v_mul_f64 v[22:23], v[46:47], v[10:11]
	v_mul_f64 v[24:25], v[46:47], v[8:9]
	global_store_dwordx4 v[12:13], v[0:3], off
	v_add_co_u32_e32 v12, vcc, s3, v12
	v_mul_f64 v[0:1], v[14:15], s[0:1]
	v_mul_f64 v[2:3], v[16:17], s[0:1]
	v_fma_f64 v[4:5], v[40:41], v[4:5], v[18:19]
	v_fma_f64 v[6:7], v[40:41], v[6:7], -v[20:21]
	v_fma_f64 v[8:9], v[44:45], v[8:9], v[22:23]
	v_fma_f64 v[10:11], v[44:45], v[10:11], -v[24:25]
	v_mov_b32_e32 v14, s2
	v_addc_co_u32_e32 v13, vcc, v13, v14, vcc
	global_store_dwordx4 v[12:13], v[0:3], off
	s_nop 0
	v_mul_f64 v[0:1], v[4:5], s[0:1]
	v_mul_f64 v[2:3], v[6:7], s[0:1]
	;; [unrolled: 1-line block ×4, first 2 shown]
	v_add_co_u32_e32 v8, vcc, s3, v12
	v_addc_co_u32_e32 v9, vcc, v13, v14, vcc
	global_store_dwordx4 v[8:9], v[0:3], off
	s_nop 0
	v_mov_b32_e32 v1, s2
	v_add_co_u32_e32 v0, vcc, s3, v8
	v_addc_co_u32_e32 v1, vcc, v9, v1, vcc
	global_store_dwordx4 v[0:1], v[4:7], off
.LBB0_10:
	s_endpgm
	.section	.rodata,"a",@progbits
	.p2align	6, 0x0
	.amdhsa_kernel bluestein_single_fwd_len1280_dim1_dp_op_CI_CI
		.amdhsa_group_segment_fixed_size 20480
		.amdhsa_private_segment_fixed_size 64
		.amdhsa_kernarg_size 104
		.amdhsa_user_sgpr_count 6
		.amdhsa_user_sgpr_private_segment_buffer 1
		.amdhsa_user_sgpr_dispatch_ptr 0
		.amdhsa_user_sgpr_queue_ptr 0
		.amdhsa_user_sgpr_kernarg_segment_ptr 1
		.amdhsa_user_sgpr_dispatch_id 0
		.amdhsa_user_sgpr_flat_scratch_init 0
		.amdhsa_user_sgpr_private_segment_size 0
		.amdhsa_uses_dynamic_stack 0
		.amdhsa_system_sgpr_private_segment_wavefront_offset 1
		.amdhsa_system_sgpr_workgroup_id_x 1
		.amdhsa_system_sgpr_workgroup_id_y 0
		.amdhsa_system_sgpr_workgroup_id_z 0
		.amdhsa_system_sgpr_workgroup_info 0
		.amdhsa_system_vgpr_workitem_id 0
		.amdhsa_next_free_vgpr 256
		.amdhsa_next_free_sgpr 28
		.amdhsa_reserve_vcc 1
		.amdhsa_reserve_flat_scratch 0
		.amdhsa_float_round_mode_32 0
		.amdhsa_float_round_mode_16_64 0
		.amdhsa_float_denorm_mode_32 3
		.amdhsa_float_denorm_mode_16_64 3
		.amdhsa_dx10_clamp 1
		.amdhsa_ieee_mode 1
		.amdhsa_fp16_overflow 0
		.amdhsa_exception_fp_ieee_invalid_op 0
		.amdhsa_exception_fp_denorm_src 0
		.amdhsa_exception_fp_ieee_div_zero 0
		.amdhsa_exception_fp_ieee_overflow 0
		.amdhsa_exception_fp_ieee_underflow 0
		.amdhsa_exception_fp_ieee_inexact 0
		.amdhsa_exception_int_div_zero 0
	.end_amdhsa_kernel
	.text
.Lfunc_end0:
	.size	bluestein_single_fwd_len1280_dim1_dp_op_CI_CI, .Lfunc_end0-bluestein_single_fwd_len1280_dim1_dp_op_CI_CI
                                        ; -- End function
	.section	.AMDGPU.csdata,"",@progbits
; Kernel info:
; codeLenInByte = 17240
; NumSgprs: 32
; NumVgprs: 256
; ScratchSize: 64
; MemoryBound: 0
; FloatMode: 240
; IeeeMode: 1
; LDSByteSize: 20480 bytes/workgroup (compile time only)
; SGPRBlocks: 3
; VGPRBlocks: 63
; NumSGPRsForWavesPerEU: 32
; NumVGPRsForWavesPerEU: 256
; Occupancy: 1
; WaveLimiterHint : 1
; COMPUTE_PGM_RSRC2:SCRATCH_EN: 1
; COMPUTE_PGM_RSRC2:USER_SGPR: 6
; COMPUTE_PGM_RSRC2:TRAP_HANDLER: 0
; COMPUTE_PGM_RSRC2:TGID_X_EN: 1
; COMPUTE_PGM_RSRC2:TGID_Y_EN: 0
; COMPUTE_PGM_RSRC2:TGID_Z_EN: 0
; COMPUTE_PGM_RSRC2:TIDIG_COMP_CNT: 0
	.type	__hip_cuid_9f4deaf8c561515c,@object ; @__hip_cuid_9f4deaf8c561515c
	.section	.bss,"aw",@nobits
	.globl	__hip_cuid_9f4deaf8c561515c
__hip_cuid_9f4deaf8c561515c:
	.byte	0                               ; 0x0
	.size	__hip_cuid_9f4deaf8c561515c, 1

	.ident	"AMD clang version 19.0.0git (https://github.com/RadeonOpenCompute/llvm-project roc-6.4.0 25133 c7fe45cf4b819c5991fe208aaa96edf142730f1d)"
	.section	".note.GNU-stack","",@progbits
	.addrsig
	.addrsig_sym __hip_cuid_9f4deaf8c561515c
	.amdgpu_metadata
---
amdhsa.kernels:
  - .args:
      - .actual_access:  read_only
        .address_space:  global
        .offset:         0
        .size:           8
        .value_kind:     global_buffer
      - .actual_access:  read_only
        .address_space:  global
        .offset:         8
        .size:           8
        .value_kind:     global_buffer
      - .actual_access:  read_only
        .address_space:  global
        .offset:         16
        .size:           8
        .value_kind:     global_buffer
      - .actual_access:  read_only
        .address_space:  global
        .offset:         24
        .size:           8
        .value_kind:     global_buffer
      - .actual_access:  read_only
        .address_space:  global
        .offset:         32
        .size:           8
        .value_kind:     global_buffer
      - .offset:         40
        .size:           8
        .value_kind:     by_value
      - .address_space:  global
        .offset:         48
        .size:           8
        .value_kind:     global_buffer
      - .address_space:  global
        .offset:         56
        .size:           8
        .value_kind:     global_buffer
      - .address_space:  global
        .offset:         64
        .size:           8
        .value_kind:     global_buffer
      - .address_space:  global
        .offset:         72
        .size:           8
        .value_kind:     global_buffer
      - .offset:         80
        .size:           4
        .value_kind:     by_value
      - .address_space:  global
        .offset:         88
        .size:           8
        .value_kind:     global_buffer
      - .address_space:  global
        .offset:         96
        .size:           8
        .value_kind:     global_buffer
    .group_segment_fixed_size: 20480
    .kernarg_segment_align: 8
    .kernarg_segment_size: 104
    .language:       OpenCL C
    .language_version:
      - 2
      - 0
    .max_flat_workgroup_size: 80
    .name:           bluestein_single_fwd_len1280_dim1_dp_op_CI_CI
    .private_segment_fixed_size: 64
    .sgpr_count:     32
    .sgpr_spill_count: 0
    .symbol:         bluestein_single_fwd_len1280_dim1_dp_op_CI_CI.kd
    .uniform_work_group_size: 1
    .uses_dynamic_stack: false
    .vgpr_count:     256
    .vgpr_spill_count: 15
    .wavefront_size: 64
amdhsa.target:   amdgcn-amd-amdhsa--gfx906
amdhsa.version:
  - 1
  - 2
...

	.end_amdgpu_metadata
